;; amdgpu-corpus repo=ROCm/aiter kind=harvested arch=n/a opt=n/a

/root/src/amdgpu-assembly/repos/ROCm__aiter/hsa/gfx950/fmoe/silu/fmoe_mxfp4_g1u1_vs_subGU_256.co:	file format elf64-amdgpu

Disassembly of section .text:

0000000000002b00 <_ZN5aiter28fmoe_mxfp4_g1u1_vs_subGU_256E>:
	s_and_b32 s1, s1, 0xffff                                   // 000000002B00: 8601FF01 0000FFFF
	s_load_dwordx2 s[8:9], s[0:1], 0x0                         // 000000002B08: C0060200 00000000
	s_load_dwordx2 s[20:21], s[0:1], 0x10                      // 000000002B10: C0060500 00000010
	s_load_dwordx2 s[24:25], s[0:1], 0x20                      // 000000002B18: C0060600 00000020
	s_load_dwordx2 s[50:51], s[0:1], 0x30                      // 000000002B20: C0060C80 00000030
	s_load_dwordx2 s[12:13], s[0:1], 0x40                      // 000000002B28: C0060300 00000040
	s_load_dwordx2 s[28:29], s[0:1], 0x50                      // 000000002B30: C0060700 00000050
	s_load_dwordx2 s[32:33], s[0:1], 0x60                      // 000000002B38: C0060800 00000060
	s_load_dwordx2 s[16:17], s[0:1], 0x70                      // 000000002B40: C0060400 00000070
	s_load_dwordx2 s[36:37], s[0:1], 0x80                      // 000000002B48: C0060900 00000080
	s_load_dwordx2 s[44:45], s[0:1], 0x90                      // 000000002B50: C0060B00 00000090
	s_load_dwordx2 s[40:41], s[0:1], 0xa0                      // 000000002B58: C0060A00 000000A0
	s_load_dwordx2 s[46:47], s[0:1], 0xb0                      // 000000002B60: C0060B80 000000B0
	s_load_dword s64, s[0:1], 0xc0                             // 000000002B68: C0021000 000000C0
	s_load_dword s65, s[0:1], 0xd0                             // 000000002B70: C0021040 000000D0
	s_load_dword s66, s[0:1], 0xe0                             // 000000002B78: C0021080 000000E0
	s_load_dword s67, s[0:1], 0xf0                             // 000000002B80: C00210C0 000000F0
	s_load_dword s68, s[0:1], 0x100                            // 000000002B88: C0021100 00000100
	s_load_dword s69, s[0:1], 0x110                            // 000000002B90: C0021140 00000110
	s_load_dword s70, s[0:1], 0x120                            // 000000002B98: C0021180 00000120
	s_load_dword s71, s[0:1], 0x130                            // 000000002BA0: C00211C0 00000130
	s_load_dword s72, s[0:1], 0x140                            // 000000002BA8: C0021200 00000140
	s_load_dword s73, s[0:1], 0x150                            // 000000002BB0: C0021240 00000150
	s_load_dword s74, s[0:1], 0x160                            // 000000002BB8: C0021280 00000160
	s_load_dword s75, s[0:1], 0x170                            // 000000002BC0: C00212C0 00000170
	s_load_dword s76, s[0:1], 0x180                            // 000000002BC8: C0021300 00000180
	v_lshrrev_b32_e32 v1, 10, v0                               // 000000002BD0: 2002008A
	v_lshrrev_b32_e32 v2, 10, v1                               // 000000002BD4: 2004028A
	v_and_b32_e32 v2, 0x3ff, v2                                // 000000002BD8: 260404FF 000003FF
	v_and_b32_e32 v1, 0x3ff, v1                                // 000000002BE0: 260202FF 000003FF
	v_and_b32_e32 v0, 0x3ff, v0                                // 000000002BE8: 260000FF 000003FF
	v_lshrrev_b32_e32 v3, 6, v0                                // 000000002BF0: 20060086
	v_and_b32_e32 v0, 63, v0                                   // 000000002BF4: 260000BF
	s_mov_b32 s2, s2                                           // 000000002BF8: BE820002
	s_mov_b32 s3, s3                                           // 000000002BFC: BE830003
	s_mov_b32 s4, s4                                           // 000000002C00: BE840004
	v_readfirstlane_b32 s7, v3                                 // 000000002C04: 7E0E0503
	s_waitcnt lgkmcnt(0)                                       // 000000002C08: BF8CC07F
	s_and_b32 s51, s51, 0xffff                                 // 000000002C0C: 8633FF33 0000FFFF
	s_load_dword s50, s[50:51], 0x0                            // 000000002C14: C0020C99 00000000
	s_and_b32 s45, s45, 0xffff                                 // 000000002C1C: 862DFF2D 0000FFFF
	s_and_b32 s47, s47, 0xffff                                 // 000000002C24: 862FFF2F 0000FFFF
	s_and_b32 s9, s9, 0xffff                                   // 000000002C2C: 8609FF09 0000FFFF
	s_mul_i32 s60, s66, s68                                    // 000000002C34: 923C4442
	s_mov_b32 s22, s60                                         // 000000002C38: BE96003C
	s_mov_b32 s26, -16                                         // 000000002C3C: BE9A00D0
	s_mov_b32 s14, -16                                         // 000000002C40: BE8E00D0
	s_mov_b32 s42, -16                                         // 000000002C44: BEAA00D0
	s_mov_b32 s30, -16                                         // 000000002C48: BE9E00D0
	s_mov_b32 s34, -16                                         // 000000002C4C: BEA200D0
	s_mov_b32 s38, -16                                         // 000000002C50: BEA600D0
	s_mov_b32 s18, -16                                         // 000000002C54: BE9200D0
	s_mul_i32 s60, s66, s71                                    // 000000002C58: 923C4742
	s_mov_b32 s10, s60                                         // 000000002C5C: BE8A003C
	s_mov_b32 s23, 0x20000                                     // 000000002C60: BE9700FF 00020000
	s_mov_b32 s27, 0x20000                                     // 000000002C68: BE9B00FF 00020000
	s_mov_b32 s15, 0x20000                                     // 000000002C70: BE8F00FF 00020000
	s_mov_b32 s43, 0x20000                                     // 000000002C78: BEAB00FF 00020000
	s_mov_b32 s31, 0x20000                                     // 000000002C80: BE9F00FF 00020000
	s_mov_b32 s35, 0x20000                                     // 000000002C88: BEA300FF 00020000
	s_mov_b32 s39, 0x20000                                     // 000000002C90: BEA700FF 00020000
	s_mov_b32 s19, 0x20000                                     // 000000002C98: BE9300FF 00020000
	s_mov_b32 s11, 0x20000                                     // 000000002CA0: BE8B00FF 00020000
	s_and_b32 s21, s21, 0xffff                                 // 000000002CA8: 8615FF15 0000FFFF
	s_and_b32 s25, s25, 0xffff                                 // 000000002CB0: 8619FF19 0000FFFF
	s_and_b32 s13, s13, 0xffff                                 // 000000002CB8: 860DFF0D 0000FFFF
	s_and_b32 s41, s41, 0xffff                                 // 000000002CC0: 8629FF29 0000FFFF
	s_and_b32 s29, s29, 0xffff                                 // 000000002CC8: 861DFF1D 0000FFFF
	s_and_b32 s33, s33, 0xffff                                 // 000000002CD0: 8621FF21 0000FFFF
	s_and_b32 s37, s37, 0xffff                                 // 000000002CD8: 8625FF25 0000FFFF
	s_and_b32 s17, s17, 0xffff                                 // 000000002CE0: 8611FF11 0000FFFF
	s_or_b32 s21, s21, 0x40000                                 // 000000002CE8: 8715FF15 00040000
	s_or_b32 s25, s25, 0x40000                                 // 000000002CF0: 8719FF19 00040000
	s_or_b32 s13, s13, 0x40000                                 // 000000002CF8: 870DFF0D 00040000
	s_or_b32 s41, s41, 0x40000                                 // 000000002D00: 8729FF29 00040000
	s_or_b32 s29, s29, 0x40000                                 // 000000002D08: 871DFF1D 00040000
	s_or_b32 s33, s33, 0x40000                                 // 000000002D10: 8721FF21 00040000
	s_or_b32 s37, s37, 0x40000                                 // 000000002D18: 8725FF25 00040000
	s_or_b32 s17, s17, 0x40000                                 // 000000002D20: 8711FF11 00040000
	v_accvgpr_write_b32 a63, 0                                 // 000000002D28: D3D9403F 18000080
	v_mov_b32_e32 v171, 0                                      // 000000002D30: 7F560280
	s_waitcnt lgkmcnt(0)                                       // 000000002D34: BF8CC07F
	s_mul_i32 s60, s3, 32                                      // 000000002D38: 923CA003
	s_cmp_lt_i32 s60, s50                                      // 000000002D3C: BF04323C
	s_cbranch_scc0 label_1186                                  // 000000002D40: BF8410F5
	s_mov_b32 s80, 0                                           // 000000002D44: BED00080
	s_mov_b32 s81, s64                                         // 000000002D48: BED10040
	s_mul_i32 s60, s3, 4                                       // 000000002D4C: 923C8403
	s_add_u32 s46, s60, s46                                    // 000000002D50: 802E2E3C
	s_addc_u32 s47, 0, s47                                     // 000000002D54: 822F2F80
	s_load_dword s5, s[46:47], 0x0                             // 000000002D58: C0020157 00000000
	s_mul_i32 s60, s3, 32                                      // 000000002D60: 923CA003
	s_lshr_b32 s61, s7, 1                                      // 000000002D64: 8F3D8107
	s_mul_i32 s61, s61, 8                                      // 000000002D68: 923D883D
	s_add_u32 s60, s61, s60                                    // 000000002D6C: 803C3C3D
	s_and_b32 s61, s7, 1                                       // 000000002D70: 863D8107
	s_mul_i32 s61, s61, 2                                      // 000000002D74: 923D823D
	s_add_u32 s60, s61, s60                                    // 000000002D78: 803C3C3D
	s_mul_i32 s60, 4, s60                                      // 000000002D7C: 923C3C84
	s_add_u32 s44, s60, s44                                    // 000000002D80: 802C2C3C
	s_addc_u32 s45, 0, s45                                     // 000000002D84: 822D2D80
	s_load_dword s82, s[44:45], 0x0                            // 000000002D88: C0021496 00000000
	s_load_dword s83, s[44:45], 0x4                            // 000000002D90: C00214D6 00000004
	s_load_dword s84, s[44:45], 0x10                           // 000000002D98: C0021516 00000010
	s_load_dword s85, s[44:45], 0x14                           // 000000002DA0: C0021556 00000014
	s_load_dword s86, s[44:45], 0x40                           // 000000002DA8: C0021596 00000040
	s_load_dword s87, s[44:45], 0x44                           // 000000002DB0: C00215D6 00000044
	s_load_dword s88, s[44:45], 0x50                           // 000000002DB8: C0021616 00000050
	s_load_dword s89, s[44:45], 0x54                           // 000000002DC0: C0021656 00000054
	s_waitcnt lgkmcnt(0)                                       // 000000002DC8: BF8CC07F
	s_and_b32 s82, s82, 0xffffff                               // 000000002DCC: 8652FF52 00FFFFFF
	s_mul_i32 s62, s82, s68                                    // 000000002DD4: 923E4452
	s_lshl_b32 s60, 0xff, 0                                    // 000000002DD8: 8E3C80FF 000000FF
	s_mov_b32 s61, 0                                           // 000000002DE0: BEBD0080
	s_mov_b64 exec, s[60:61]                                   // 000000002DE4: BEFE013C
	v_mov_b32_e32 v35, s62                                     // 000000002DE8: 7E46023E
	s_and_b32 s83, s83, 0xffffff                               // 000000002DEC: 8653FF53 00FFFFFF
	s_mul_i32 s62, s83, s68                                    // 000000002DF4: 923E4453
	s_lshl_b32 s60, 0xff, 8                                    // 000000002DF8: 8E3C88FF 000000FF
	s_mov_b64 exec, s[60:61]                                   // 000000002E00: BEFE013C
	v_mov_b32_e32 v35, s62                                     // 000000002E04: 7E46023E
	s_and_b32 s84, s84, 0xffffff                               // 000000002E08: 8654FF54 00FFFFFF
	s_mul_i32 s62, s84, s68                                    // 000000002E10: 923E4454
	s_lshl_b32 s60, 0xff, 16                                   // 000000002E14: 8E3C90FF 000000FF
	s_mov_b64 exec, s[60:61]                                   // 000000002E1C: BEFE013C
	v_mov_b32_e32 v35, s62                                     // 000000002E20: 7E46023E
	s_and_b32 s85, s85, 0xffffff                               // 000000002E24: 8655FF55 00FFFFFF
	s_mul_i32 s62, s85, s68                                    // 000000002E2C: 923E4455
	s_lshl_b32 s60, 0xff, 24                                   // 000000002E30: 8E3C98FF 000000FF
	s_mov_b64 exec, s[60:61]                                   // 000000002E38: BEFE013C
	v_mov_b32_e32 v35, s62                                     // 000000002E3C: 7E46023E
	s_and_b32 s86, s86, 0xffffff                               // 000000002E40: 8656FF56 00FFFFFF
	s_mul_i32 s62, s86, s68                                    // 000000002E48: 923E4456
	s_lshl_b32 s61, 0xff, 0                                    // 000000002E4C: 8E3D80FF 000000FF
	s_mov_b32 s60, 0                                           // 000000002E54: BEBC0080
	s_mov_b64 exec, s[60:61]                                   // 000000002E58: BEFE013C
	v_mov_b32_e32 v35, s62                                     // 000000002E5C: 7E46023E
	s_and_b32 s87, s87, 0xffffff                               // 000000002E60: 8657FF57 00FFFFFF
	s_mul_i32 s62, s87, s68                                    // 000000002E68: 923E4457
	s_lshl_b32 s61, 0xff, 8                                    // 000000002E6C: 8E3D88FF 000000FF
	s_mov_b64 exec, s[60:61]                                   // 000000002E74: BEFE013C
	v_mov_b32_e32 v35, s62                                     // 000000002E78: 7E46023E
	s_and_b32 s88, s88, 0xffffff                               // 000000002E7C: 8658FF58 00FFFFFF
	s_mul_i32 s62, s88, s68                                    // 000000002E84: 923E4458
	s_lshl_b32 s61, 0xff, 16                                   // 000000002E88: 8E3D90FF 000000FF
	s_mov_b64 exec, s[60:61]                                   // 000000002E90: BEFE013C
	v_mov_b32_e32 v35, s62                                     // 000000002E94: 7E46023E
	s_and_b32 s89, s89, 0xffffff                               // 000000002E98: 8659FF59 00FFFFFF
	s_mul_i32 s62, s89, s68                                    // 000000002EA0: 923E4459
	s_lshl_b32 s61, 0xff, 24                                   // 000000002EA4: 8E3D98FF 000000FF
	s_mov_b64 exec, s[60:61]                                   // 000000002EAC: BEFE013C
	v_mov_b32_e32 v35, s62                                     // 000000002EB0: 7E46023E
	s_mov_b32 s60, -1                                          // 000000002EB4: BEBC00C1
	s_mov_b32 s61, -1                                          // 000000002EB8: BEBD00C1
	s_mov_b64 exec, s[60:61]                                   // 000000002EBC: BEFE013C
	v_and_b32_e64 v2, v0, 7                                    // 000000002EC0: D1130002 00010F00
	v_lshlrev_b32_e32 v2, 4, v2                                // 000000002EC8: 24040484
	v_add_u32_e32 v35, v35, v2                                 // 000000002ECC: 68460523
	s_mov_b32 s62, 0x80                                        // 000000002ED0: BEBE00FF 00000080
	v_add_u32_e64 v36, v35, s62                                // 000000002ED8: D1340024 00007D23
	v_lshlrev_b32_e32 v2, 2, v0                                // 000000002EE0: 24040082
	s_mul_i32 s60, s82, s71                                    // 000000002EE4: 923C4752
	v_add_u32_e64 v92, v2, s60                                 // 000000002EE8: D134005C 00007902
	v_mov_b32_e32 v93, 0                                       // 000000002EF0: 7EBA0280
	s_mul_i32 s60, s83, s71                                    // 000000002EF4: 923C4753
	v_add_u32_e64 v94, v2, s60                                 // 000000002EF8: D134005E 00007902
	v_mov_b32_e32 v95, 0                                       // 000000002F00: 7EBE0280
	s_mul_i32 s60, s84, s71                                    // 000000002F04: 923C4754
	v_add_u32_e64 v96, v2, s60                                 // 000000002F08: D1340060 00007902
	v_mov_b32_e32 v97, 0                                       // 000000002F10: 7EC20280
	s_mul_i32 s60, s85, s71                                    // 000000002F14: 923C4755
	v_add_u32_e64 v98, v2, s60                                 // 000000002F18: D1340062 00007902
	v_mov_b32_e32 v99, 0                                       // 000000002F20: 7EC60280
	s_mul_i32 s60, s86, s71                                    // 000000002F24: 923C4756
	v_add_u32_e64 v100, v2, s60                                // 000000002F28: D1340064 00007902
	v_mov_b32_e32 v101, 0                                      // 000000002F30: 7ECA0280
	s_mul_i32 s60, s87, s71                                    // 000000002F34: 923C4757
	v_add_u32_e64 v102, v2, s60                                // 000000002F38: D1340066 00007902
	v_mov_b32_e32 v103, 0                                      // 000000002F40: 7ECE0280
	s_mul_i32 s60, s88, s71                                    // 000000002F44: 923C4758
	v_add_u32_e64 v104, v2, s60                                // 000000002F48: D1340068 00007902
	v_mov_b32_e32 v105, 0                                      // 000000002F50: 7ED20280
	s_mul_i32 s60, s89, s71                                    // 000000002F54: 923C4759
	v_add_u32_e64 v106, v2, s60                                // 000000002F58: D134006A 00007902
	v_mov_b32_e32 v107, 0                                      // 000000002F60: 7ED60280
	s_mul_i32 s60, s7, 0x420                                   // 000000002F64: 923CFF07 00000420
	s_add_u32 s50, 0, s60                                      // 000000002F6C: 80323C80
	s_add_u32 s51, 0x1080, s50                                 // 000000002F70: 803332FF 00001080
	v_and_b32_e32 v2, 15, v0                                   // 000000002F78: 2604008F
	v_lshrrev_b32_e32 v3, 3, v2                                // 000000002F7C: 20060483
	v_mul_lo_u32 v3, 2, v3                                     // 000000002F80: D2850003 00020682
	v_and_b32_e32 v2, 3, v0                                    // 000000002F88: 26040083
	v_lshrrev_b32_e32 v4, 1, v2                                // 000000002F8C: 20080481
	v_add_u32_e32 v2, v3, v4                                   // 000000002F90: 68040903
	v_mul_i32_i24_e32 v6, 0x420, v2                            // 000000002F94: 0C0C04FF 00000420
	v_and_b32_e32 v2, 7, v0                                    // 000000002F9C: 26040087
	v_lshrrev_b32_e32 v3, 2, v2                                // 000000002FA0: 20060482
	v_mul_i32_i24_e32 v3, 0x100, v3                            // 000000002FA4: 0C0606FF 00000100
	v_and_b32_e32 v2, 1, v0                                    // 000000002FAC: 26040081
	v_mul_i32_i24_e32 v4, 0x80, v2                             // 000000002FB0: 0C0804FF 00000080
	v_add_u32_e32 v6, v3, v6                                   // 000000002FB8: 680C0D03
	v_add_u32_e32 v6, v4, v6                                   // 000000002FBC: 680C0D04
	v_lshrrev_b32_e32 v2, 4, v0                                // 000000002FC0: 20040084
	v_mul_lo_u32 v2, 16, v2                                    // 000000002FC4: D2850002 00020490
	v_add_u32_e32 v6, v2, v6                                   // 000000002FCC: 680C0D02
	s_mul_i32 s60, s2, 0x100                                   // 000000002FD0: 923CFF02 00000100
	s_mul_i32 s60, s60, s69                                    // 000000002FD8: 923C453C
	s_mul_i32 s61, s5, s72                                     // 000000002FDC: 923D4805
	s_add_u32 s60, s61, s60                                    // 000000002FE0: 803C3C3D
	s_add_u32 s24, s60, s24                                    // 000000002FE4: 8018183C
	s_addc_u32 s25, 0, s25                                     // 000000002FE8: 82191980
	s_mul_i32 s60, s7, 32                                      // 000000002FEC: 923CA007
	s_mul_i32 s60, s60, s69                                    // 000000002FF0: 923C453C
	v_lshlrev_b32_e32 v36, 4, v0                               // 000000002FF4: 24480084
	v_add_u32_e32 v36, s60, v36                                // 000000002FF8: 6848483C
	s_mul_i32 s60, 16, s69                                     // 000000002FFC: 923C4590
	v_add_u32_e32 v37, s60, v36                                // 000000003000: 684A483C
	s_mul_i32 s60, 0x80, s69                                   // 000000003004: 923C45FF 00000080
	v_add_u32_e32 v38, s60, v36                                // 00000000300C: 684C483C
	v_add_u32_e32 v39, s60, v37                                // 000000003010: 684E4A3C
	s_mov_b32 s92, s24                                         // 000000003014: BEDC0018
	s_mov_b32 s93, s25                                         // 000000003018: BEDD0019
	s_mov_b32 s94, s26                                         // 00000000301C: BEDE001A
	s_mov_b32 s95, s27                                         // 000000003020: BEDF001B
	s_mul_i32 s60, s69, s65                                    // 000000003024: 923C4145
	s_add_u32 s92, s60, s92                                    // 000000003028: 805C5C3C
	s_addc_u32 s93, 0, s93                                     // 00000000302C: 825D5D80
	s_mul_i32 s60, s2, 0x800                                   // 000000003030: 923CFF02 00000800
	s_mul_i32 s61, s5, s73                                     // 000000003038: 923D4905
	s_add_u32 s60, s61, s60                                    // 00000000303C: 803C3C3D
	s_add_u32 s12, s60, s12                                    // 000000003040: 800C0C3C
	s_addc_u32 s13, 0, s13                                     // 000000003044: 820D0D80
	s_mul_i32 s60, s7, 32                                      // 000000003048: 923CA007
	s_mul_i32 s60, s60, s70                                    // 00000000304C: 923C463C
	v_lshlrev_b32_e32 v40, 4, v0                               // 000000003050: 24500084
	v_add_u32_e32 v40, s60, v40                                // 000000003054: 6850503C
	s_mul_i32 s60, 16, s70                                     // 000000003058: 923C4690
	v_add_u32_e32 v41, s60, v40                                // 00000000305C: 6852503C
	s_mul_i32 s60, 0x80, s70                                   // 000000003060: 923C46FF 00000080
	v_add_u32_e32 v42, s60, v40                                // 000000003068: 6854503C
	v_add_u32_e32 v43, s60, v41                                // 00000000306C: 6856523C
	s_mul_i32 s56, s70, 0x100                                  // 000000003070: 9238FF46 00000100
	s_mul_i32 s60, s3, 32                                      // 000000003078: 923CA003
	s_mul_i32 s60, 4, s60                                      // 00000000307C: 923C3C84
	s_add_u32 s40, s60, s40                                    // 000000003080: 8028283C
	s_addc_u32 s41, 0, s41                                     // 000000003084: 82292980
	v_and_b32_e32 v2, 15, v0                                   // 000000003088: 2604008F
	v_lshlrev_b32_e32 v13, 2, v2                               // 00000000308C: 241A0482
	v_add_u32_e32 v14, 64, v13                                 // 000000003090: 681C1AC0
	s_mov_b32 s4, 0x100                                        // 000000003094: BE8400FF 00000100
	v_lshlrev_b32_e32 v15, 2, v0                               // 00000000309C: 241E0082
	s_lshr_b32 s61, s64, 5                                     // 0000000030A0: 8F3D8540
	s_mul_i32 s60, s7, 32                                      // 0000000030A4: 923CA007
	s_mul_i32 s60, s61, s60                                    // 0000000030A8: 923C3C3D
	v_add_u32_e64 v15, v15, s60                                // 0000000030AC: D134000F 0000790F
	s_mul_i32 s60, s65, s61                                    // 0000000030B4: 923C3D41
	v_add_u32_e64 v17, v15, s60                                // 0000000030B8: D1340011 0000790F
	s_mul_i32 s60, s61, 0x80                                   // 0000000030C0: 923CFF3D 00000080
	v_add_u32_e64 v16, v15, s60                                // 0000000030C8: D1340010 0000790F
	v_add_u32_e64 v18, v17, s60                                // 0000000030D0: D1340012 00007911
	s_mul_i32 s60, s2, 0x100                                   // 0000000030D8: 923CFF02 00000100
	s_mul_i32 s60, s60, s61                                    // 0000000030E0: 923C3D3C
	s_mul_i32 s61, s5, s74                                     // 0000000030E4: 923D4A05
	s_add_u32 s61, s61, s60                                    // 0000000030E8: 803D3C3D
	s_add_u32 s32, s61, s32                                    // 0000000030EC: 8020203D
	s_addc_u32 s33, 0, s33                                     // 0000000030F0: 82212180
	v_lshlrev_b32_e32 v10, 2, v0                               // 0000000030F4: 24140082
	s_lshr_b32 s60, s65, 5                                     // 0000000030F8: 8F3C8541
	s_mul_i32 s61, s7, 32                                      // 0000000030FC: 923DA007
	s_mul_i32 s61, s61, s60                                    // 000000003100: 923D3C3D
	v_add_u32_e32 v10, s61, v10                                // 000000003104: 6814143D
	s_mul_i32 s60, s60, 0x80                                   // 000000003108: 923CFF3C 00000080
	v_add_u32_e64 v11, v10, s60                                // 000000003110: D134000B 0000790A
	s_mul_i32 s60, s2, 0x100                                   // 000000003118: 923CFF02 00000100
	s_mul_i32 s61, s5, s75                                     // 000000003120: 923D4B05
	s_add_u32 s60, s60, s61                                    // 000000003124: 803C3D3C
	s_add_u32 s16, s60, s16                                    // 000000003128: 8010103C
	s_addc_u32 s17, 0, s17                                     // 00000000312C: 82111180
	s_mov_b32 s57, 0x80                                        // 000000003130: BEB900FF 00000080
	s_mov_b32 s58, 0x800                                       // 000000003138: BEBA00FF 00000800
	s_lshr_b32 s60, s65, 5                                     // 000000003140: 8F3C8541
	s_mul_i32 s79, s60, 0x100                                  // 000000003144: 924FFF3C 00000100
	s_mov_b32 s59, 0                                           // 00000000314C: BEBB0080
	s_mov_b32 s90, s58                                         // 000000003150: BEDA003A
	s_mov_b32 s52, 0x7060302                                   // 000000003154: BEB400FF 07060302
	s_mov_b32 s53, 0x400                                       // 00000000315C: BEB500FF 00000400
	s_mov_b32 s54, 0x40100                                     // 000000003164: BEB600FF 00040100
	s_mov_b32 s55, 0x4020100                                   // 00000000316C: BEB700FF 04020100
	s_mov_b32 s6, 0x3fb8aa3b                                   // 000000003174: BE8600FF 3FB8AA3B
	s_mov_b32 s77, 0xbd92220c                                  // 00000000317C: BECD00FF BD92220C
	s_mov_b32 m0, s50                                          // 000000003184: BEFC0032
	s_mul_i32 s60, s3, 32                                      // 000000003188: 923CA003
	s_mul_i32 s60, s64, s60                                    // 00000000318C: 923C3C40
	s_lshr_b32 s60, s60, 5                                     // 000000003190: 8F3C853C
	s_add_u32 s28, s60, s28                                    // 000000003194: 801C1C3C
	s_addc_u32 s29, 0, s29                                     // 000000003198: 821D1D80
	v_lshlrev_b32_e32 v12, 2, v0                               // 00000000319C: 24180082
	s_mov_b32 s3, 0x100                                        // 0000000031A0: BE8300FF 00000100
	buffer_load_dword v21, v15, s[32:35], 0 offen              // 0000000031A8: E0501000 8008150F
	buffer_load_dword v22, v16, s[32:35], 0 offen              // 0000000031B0: E0501000 80081610
	buffer_load_dword v29, v13, s[40:43], 0 offen              // 0000000031B8: E0501000 800A1D0D
	buffer_load_dword v30, v14, s[40:43], 0 offen              // 0000000031C0: E0501000 800A1E0E
	buffer_load_dwordx4 v35, s[20:23], 0 offen lds             // 0000000031C8: E05D1000 80050023
	s_add_u32 m0, 0, s51                                       // 0000000031D0: 807C3380
	buffer_load_dword v19, v12, s[28:31], 0 offen              // 0000000031D4: E0501000 8007130C
	s_add_u32 s20, s57, s20                                    // 0000000031DC: 80141439
	s_addc_u32 s21, 0, s21                                     // 0000000031E0: 82151580
	s_add_u32 s28, s3, s28                                     // 0000000031E4: 801C1C03
	s_addc_u32 s29, 0, s29                                     // 0000000031E8: 821D1D80
	buffer_load_dwordx4 a[0:3], v36, s[24:27], 0 offen         // 0000000031EC: E05C1000 80860024
	buffer_load_dwordx4 a[4:7], v37, s[24:27], 0 offen         // 0000000031F4: E05C1000 80860425
	buffer_load_dwordx4 a[8:11], v38, s[24:27], 0 offen        // 0000000031FC: E05C1000 80860826
	buffer_load_dwordx4 a[12:15], v39, s[24:27], 0 offen       // 000000003204: E05C1000 80860C27
	buffer_load_dwordx4 a[16:19], v36, s[24:27], 0 offen offset:1024// 00000000320C: E05C1400 80861024
	buffer_load_dwordx4 a[20:23], v37, s[24:27], 0 offen offset:1024// 000000003214: E05C1400 80861425
	buffer_load_dwordx4 a[24:27], v38, s[24:27], 0 offen offset:1024// 00000000321C: E05C1400 80861826
	buffer_load_dwordx4 a[28:31], v39, s[24:27], 0 offen offset:1024// 000000003224: E05C1400 80861C27
	s_add_u32 s24, s58, s24                                    // 00000000322C: 8018183A
	s_addc_u32 s25, 0, s25                                     // 000000003230: 82191980
	v_mov_b32_e32 v44, 0                                       // 000000003234: 7E580280
	v_mov_b32_e32 v76, 0                                       // 000000003238: 7E980280
	v_mov_b32_e32 v45, 0                                       // 00000000323C: 7E5A0280
	v_mov_b32_e32 v77, 0                                       // 000000003240: 7E9A0280
	v_mov_b32_e32 v46, 0                                       // 000000003244: 7E5C0280
	v_mov_b32_e32 v78, 0                                       // 000000003248: 7E9C0280
	v_mov_b32_e32 v47, 0                                       // 00000000324C: 7E5E0280
	v_mov_b32_e32 v79, 0                                       // 000000003250: 7E9E0280
	v_mov_b32_e32 v48, 0                                       // 000000003254: 7E600280
	v_mov_b32_e32 v80, 0                                       // 000000003258: 7EA00280
	v_mov_b32_e32 v49, 0                                       // 00000000325C: 7E620280
	v_mov_b32_e32 v81, 0                                       // 000000003260: 7EA20280
	v_mov_b32_e32 v50, 0                                       // 000000003264: 7E640280
	v_mov_b32_e32 v82, 0                                       // 000000003268: 7EA40280
	v_mov_b32_e32 v51, 0                                       // 00000000326C: 7E660280
	v_mov_b32_e32 v83, 0                                       // 000000003270: 7EA60280
	v_mov_b32_e32 v52, 0                                       // 000000003274: 7E680280
	v_mov_b32_e32 v84, 0                                       // 000000003278: 7EA80280
	v_mov_b32_e32 v53, 0                                       // 00000000327C: 7E6A0280
	v_mov_b32_e32 v85, 0                                       // 000000003280: 7EAA0280
	v_mov_b32_e32 v54, 0                                       // 000000003284: 7E6C0280
	v_mov_b32_e32 v86, 0                                       // 000000003288: 7EAC0280
	v_mov_b32_e32 v55, 0                                       // 00000000328C: 7E6E0280
	v_mov_b32_e32 v87, 0                                       // 000000003290: 7EAE0280
	v_mov_b32_e32 v56, 0                                       // 000000003294: 7E700280
	v_mov_b32_e32 v88, 0                                       // 000000003298: 7EB00280
	v_mov_b32_e32 v57, 0                                       // 00000000329C: 7E720280
	v_mov_b32_e32 v89, 0                                       // 0000000032A0: 7EB20280
	v_mov_b32_e32 v58, 0                                       // 0000000032A4: 7E740280
	v_mov_b32_e32 v90, 0                                       // 0000000032A8: 7EB40280
	v_mov_b32_e32 v59, 0                                       // 0000000032AC: 7E760280
	v_mov_b32_e32 v91, 0                                       // 0000000032B0: 7EB60280
	v_mov_b32_e32 v60, 0                                       // 0000000032B4: 7E780280
	v_mov_b32_e32 v92, 0                                       // 0000000032B8: 7EB80280
	v_mov_b32_e32 v61, 0                                       // 0000000032BC: 7E7A0280
	v_mov_b32_e32 v93, 0                                       // 0000000032C0: 7EBA0280
	v_mov_b32_e32 v62, 0                                       // 0000000032C4: 7E7C0280
	v_mov_b32_e32 v94, 0                                       // 0000000032C8: 7EBC0280
	v_mov_b32_e32 v63, 0                                       // 0000000032CC: 7E7E0280
	v_mov_b32_e32 v95, 0                                       // 0000000032D0: 7EBE0280
	v_mov_b32_e32 v64, 0                                       // 0000000032D4: 7E800280
	v_mov_b32_e32 v96, 0                                       // 0000000032D8: 7EC00280
	v_mov_b32_e32 v65, 0                                       // 0000000032DC: 7E820280
	v_mov_b32_e32 v97, 0                                       // 0000000032E0: 7EC20280
	v_mov_b32_e32 v66, 0                                       // 0000000032E4: 7E840280
	v_mov_b32_e32 v98, 0                                       // 0000000032E8: 7EC40280
	v_mov_b32_e32 v67, 0                                       // 0000000032EC: 7E860280
	v_mov_b32_e32 v99, 0                                       // 0000000032F0: 7EC60280
	v_mov_b32_e32 v68, 0                                       // 0000000032F4: 7E880280
	v_mov_b32_e32 v100, 0                                      // 0000000032F8: 7EC80280
	v_mov_b32_e32 v69, 0                                       // 0000000032FC: 7E8A0280
	v_mov_b32_e32 v101, 0                                      // 000000003300: 7ECA0280
	v_mov_b32_e32 v70, 0                                       // 000000003304: 7E8C0280
	v_mov_b32_e32 v102, 0                                      // 000000003308: 7ECC0280
	v_mov_b32_e32 v71, 0                                       // 00000000330C: 7E8E0280
	v_mov_b32_e32 v103, 0                                      // 000000003310: 7ECE0280
	v_mov_b32_e32 v72, 0                                       // 000000003314: 7E900280
	v_mov_b32_e32 v104, 0                                      // 000000003318: 7ED00280
	v_mov_b32_e32 v73, 0                                       // 00000000331C: 7E920280
	v_mov_b32_e32 v105, 0                                      // 000000003320: 7ED20280
	v_mov_b32_e32 v74, 0                                       // 000000003324: 7E940280
	v_mov_b32_e32 v106, 0                                      // 000000003328: 7ED40280
	v_mov_b32_e32 v75, 0                                       // 00000000332C: 7E960280
	v_mov_b32_e32 v107, 0                                      // 000000003330: 7ED60280
	v_lshrrev_b32_e32 v2, 4, v0                                // 000000003334: 20040084
	v_mul_lo_u32 v8, 34, v2                                    // 000000003338: D2850008 000204A2
	v_and_b32_e32 v2, 15, v0                                   // 000000003340: 2604008F
	v_mul_lo_u32 v3, 2, v2                                     // 000000003344: D2850003 00020482
	v_add_u32_e32 v8, v3, v8                                   // 00000000334C: 68101103
	s_mul_i32 s60, s7, 0x110                                   // 000000003350: 923CFF07 00000110
	v_add_u32_e32 v8, s60, v8                                  // 000000003358: 6810103C
	v_lshlrev_b32_e32 v8, 2, v8                                // 00000000335C: 24101082
	v_lshrrev_b32_e32 v2, 1, v0                                // 000000003360: 20040081
	v_mul_lo_u32 v9, 34, v2                                    // 000000003364: D2850009 000204A2
	v_and_b32_e32 v3, 1, v0                                    // 00000000336C: 26060081
	v_add_u32_e32 v9, v3, v9                                   // 000000003370: 68121303
	s_lshr_b32 s60, s7, 1                                      // 000000003374: 8F3C8107
	s_mul_i32 s60, s60, 8                                      // 000000003378: 923C883C
	s_and_b32 s61, s7, 1                                       // 00000000337C: 863D8107
	s_mul_i32 s61, s61, 2                                      // 000000003380: 923D823D
	s_add_u32 s60, s61, s60                                    // 000000003384: 803C3C3D
	s_mul_i32 s60, 2, s60                                      // 000000003388: 923C3C82
	v_add_u32_e32 v9, s60, v9                                  // 00000000338C: 6812123C
	v_lshlrev_b32_e32 v9, 2, v9                                // 000000003390: 24121282
	s_waitcnt vmcnt(8)                                         // 000000003394: BF8C0F78
	s_barrier                                                  // 000000003398: BF8A0000
	ds_read_b128 v[108:111], v6                                // 00000000339C: D9FE0000 6C000006
	ds_read_b128 v[112:115], v6 offset:64                      // 0000000033A4: D9FE0040 70000006
	ds_read_b128 v[116:119], v6 offset:512                     // 0000000033AC: D9FE0200 74000006
	ds_read_b128 v[120:123], v6 offset:576                     // 0000000033B4: D9FE0240 78000006
	s_cmp_lt_i32 s7, 2                                         // 0000000033BC: BF048207
	s_cbranch_scc0 label_0934                                  // 0000000033C0: BF840703

00000000000033c4 <label_0231>:
	s_waitcnt vmcnt(6) lgkmcnt(0)                              // 0000000033C4: BF8C0076
	s_barrier                                                  // 0000000033C8: BF8A0000
	v_mfma_scale_f32_16x16x128_f8f6f4 v[44:47], a[0:3], v[108:111], v[44:47], v21, v19 op_sel_hi:[0,0,0] cbsz:4 blgp:4// 0000000033CC: D3AC6000 00022715 D3AD0C2C 8CB2D900
	v_mfma_scale_f32_16x16x128_f8f6f4 v[60:63], a[0:3], v[116:119], v[60:63], v21, v19 op_sel_hi:[0,0,0] cbsz:4 blgp:4// 0000000033DC: D3AC7000 00022715 D3AD0C3C 8CF2E900
	buffer_load_dwordx4 a[32:35], v36, s[92:95], 0 offen       // 0000000033EC: E05C1000 80972024
	buffer_load_dwordx4 v35, s[20:23], 0 offen lds             // 0000000033F4: E05D1000 80050023
	s_add_u32 m0, 0, s50                                       // 0000000033FC: 807C3280
	v_mfma_scale_f32_16x16x128_f8f6f4 v[48:51], a[4:7], v[108:111], v[48:51], v21, v19 op_sel_hi:[0,0,0] cbsz:4 blgp:4// 000000003400: D3AC6800 00022715 D3AD0C30 8CC2D904
	v_mfma_scale_f32_16x16x128_f8f6f4 v[64:67], a[4:7], v[116:119], v[64:67], v21, v19 op_sel_hi:[0,0,0] cbsz:4 blgp:4// 000000003410: D3AC7800 00022715 D3AD0C40 8D02E904
	buffer_load_dwordx4 a[36:39], v37, s[92:95], 0 offen       // 000000003420: E05C1000 80972425
	buffer_load_dword v20, v12, s[28:31], 0 offen              // 000000003428: E0501000 8007140C
	buffer_load_dword v25, v17, s[32:35], 0 offen              // 000000003430: E0501000 80081911
	buffer_load_dword v26, v18, s[32:35], 0 offen              // 000000003438: E0501000 80081A12
	s_waitcnt vmcnt(10)                                        // 000000003440: BF8C0F7A
	v_mfma_scale_f32_16x16x128_f8f6f4 v[52:55], a[8:11], v[108:111], v[52:55], v22, v19 op_sel_hi:[0,0,0] cbsz:4 blgp:4// 000000003444: D3AC6000 00022716 D3AD0C34 8CD2D908
	v_mfma_scale_f32_16x16x128_f8f6f4 v[68:71], a[8:11], v[116:119], v[68:71], v22, v19 op_sel_hi:[0,0,0] cbsz:4 blgp:4// 000000003454: D3AC7000 00022716 D3AD0C44 8D12E908
	buffer_load_dwordx4 a[40:43], v38, s[92:95], 0 offen       // 000000003464: E05C1000 80972826
	v_mfma_scale_f32_16x16x128_f8f6f4 v[56:59], a[12:15], v[108:111], v[56:59], v22, v19 op_sel_hi:[0,0,0] cbsz:4 blgp:4// 00000000346C: D3AC6800 00022716 D3AD0C38 8CE2D90C
	v_mfma_scale_f32_16x16x128_f8f6f4 v[72:75], a[12:15], v[116:119], v[72:75], v22, v19 op_sel_hi:[0,0,0] cbsz:4 blgp:4// 00000000347C: D3AC7800 00022716 D3AD0C48 8D22E90C
	buffer_load_dwordx4 a[44:47], v39, s[92:95], 0 offen       // 00000000348C: E05C1000 80972C27
	s_nop 0                                                    // 000000003494: BF800000
	s_waitcnt vmcnt(10)                                        // 000000003498: BF8C0F7A
	v_mfma_scale_f32_16x16x128_f8f6f4 v[44:47], a[16:19], v[112:115], v[44:47], v21, v19 op_sel_hi:[0,0,0] cbsz:4 blgp:4// 00000000349C: D3AC6000 18022715 D3AD0C2C 8CB2E110
	v_mfma_scale_f32_16x16x128_f8f6f4 v[60:63], a[16:19], v[120:123], v[60:63], v21, v19 op_sel_hi:[0,0,0] cbsz:4 blgp:4// 0000000034AC: D3AC7000 18022715 D3AD0C3C 8CF2F110
	buffer_load_dwordx4 a[48:51], v36, s[92:95], 0 offen offset:1024// 0000000034BC: E05C1400 80973024
	v_mfma_scale_f32_16x16x128_f8f6f4 v[48:51], a[20:23], v[112:115], v[48:51], v21, v19 op_sel_hi:[0,0,0] cbsz:4 blgp:4// 0000000034C4: D3AC6800 18022715 D3AD0C30 8CC2E114
	v_mfma_scale_f32_16x16x128_f8f6f4 v[64:67], a[20:23], v[120:123], v[64:67], v21, v19 op_sel_hi:[0,0,0] cbsz:4 blgp:4// 0000000034D4: D3AC7800 18022715 D3AD0C40 8D02F114
	buffer_load_dwordx4 a[52:55], v37, s[92:95], 0 offen offset:1024// 0000000034E4: E05C1400 80973425
	s_waitcnt vmcnt(10)                                        // 0000000034EC: BF8C0F7A
	v_mfma_scale_f32_16x16x128_f8f6f4 v[52:55], a[24:27], v[112:115], v[52:55], v22, v19 op_sel_hi:[0,0,0] cbsz:4 blgp:4// 0000000034F0: D3AC6000 18022716 D3AD0C34 8CD2E118
	v_mfma_scale_f32_16x16x128_f8f6f4 v[68:71], a[24:27], v[120:123], v[68:71], v22, v19 op_sel_hi:[0,0,0] cbsz:4 blgp:4// 000000003500: D3AC7000 18022716 D3AD0C44 8D12F118
	buffer_load_dwordx4 a[56:59], v38, s[92:95], 0 offen offset:1024// 000000003510: E05C1400 80973826
	v_mfma_scale_f32_16x16x128_f8f6f4 v[56:59], a[28:31], v[112:115], v[56:59], v22, v19 op_sel_hi:[0,0,0] cbsz:4 blgp:4// 000000003518: D3AC6800 18022716 D3AD0C38 8CE2E11C
	v_mfma_scale_f32_16x16x128_f8f6f4 v[72:75], a[28:31], v[120:123], v[72:75], v22, v19 op_sel_hi:[0,0,0] cbsz:4 blgp:4// 000000003528: D3AC7800 18022716 D3AD0C48 8D22F11C
	buffer_load_dwordx4 a[60:63], v39, s[92:95], 0 offen offset:1024// 000000003538: E05C1400 80973C27
	s_add_u32 s60, 0x100, s80                                  // 000000003540: 803C50FF 00000100
	s_cmp_lt_u32 s60, s81                                      // 000000003548: BF0A513C
	s_cselect_b32 s4, s4, 0                                    // 00000000354C: 85048004
	s_add_u32 s32, s4, s32                                     // 000000003550: 80202004
	s_addc_u32 s33, 0, s33                                     // 000000003554: 82212180
	s_waitcnt vmcnt(6)                                         // 000000003558: BF8C0F76
	s_barrier                                                  // 00000000355C: BF8A0000
	v_mfma_scale_f32_16x16x128_f8f6f4 v[76:79], a[32:35], v[108:111], v[76:79], v25, v19 op_sel_hi:[0,0,0] cbsz:4 blgp:4// 000000003560: D3AC6000 00022719 D3AD0C4C 8D32D920
	v_mfma_scale_f32_16x16x128_f8f6f4 v[92:95], a[32:35], v[116:119], v[92:95], v25, v19 op_sel_hi:[0,0,0] cbsz:4 blgp:4// 000000003570: D3AC7000 00022719 D3AD0C5C 8D72E920
	buffer_load_dwordx4 a[0:3], v36, s[24:27], 0 offen         // 000000003580: E05C1000 80860024
	buffer_load_dword v23, v15, s[32:35], 0 offen              // 000000003588: E0501000 8008170F
	buffer_load_dword v24, v16, s[32:35], 0 offen              // 000000003590: E0501000 80081810
	v_mfma_scale_f32_16x16x128_f8f6f4 v[80:83], a[36:39], v[108:111], v[80:83], v25, v19 op_sel_hi:[0,0,0] cbsz:4 blgp:4// 000000003598: D3AC6800 00022719 D3AD0C50 8D42D924
	v_mfma_scale_f32_16x16x128_f8f6f4 v[96:99], a[36:39], v[116:119], v[96:99], v25, v19 op_sel_hi:[0,0,0] cbsz:4 blgp:4// 0000000035A8: D3AC7800 00022719 D3AD0C60 8D82E924
	buffer_load_dwordx4 a[4:7], v37, s[24:27], 0 offen         // 0000000035B8: E05C1000 80860425
	s_waitcnt vmcnt(8)                                         // 0000000035C0: BF8C0F78
	v_mfma_scale_f32_16x16x128_f8f6f4 v[84:87], a[40:43], v[108:111], v[84:87], v26, v19 op_sel_hi:[0,0,0] cbsz:4 blgp:4// 0000000035C4: D3AC6000 0002271A D3AD0C54 8D52D928
	v_mfma_scale_f32_16x16x128_f8f6f4 v[100:103], a[40:43], v[116:119], v[100:103], v26, v19 op_sel_hi:[0,0,0] cbsz:4 blgp:4// 0000000035D4: D3AC7000 0002271A D3AD0C64 8D92E928
	buffer_load_dwordx4 a[8:11], v38, s[24:27], 0 offen        // 0000000035E4: E05C1000 80860826
	v_mfma_scale_f32_16x16x128_f8f6f4 v[88:91], a[44:47], v[108:111], v[88:91], v26, v19 op_sel_hi:[0,0,0] cbsz:4 blgp:4// 0000000035EC: D3AC6800 0002271A D3AD0C58 8D62D92C
	v_mfma_scale_f32_16x16x128_f8f6f4 v[104:107], a[44:47], v[116:119], v[104:107], v26, v19 op_sel_hi:[0,0,0] cbsz:4 blgp:4// 0000000035FC: D3AC7800 0002271A D3AD0C68 8DA2E92C
	buffer_load_dwordx4 a[12:15], v39, s[24:27], 0 offen       // 00000000360C: E05C1000 80860C27
	s_waitcnt vmcnt(8)                                         // 000000003614: BF8C0F78
	v_mfma_scale_f32_16x16x128_f8f6f4 v[76:79], a[48:51], v[112:115], v[76:79], v25, v19 op_sel_hi:[0,0,0] cbsz:4 blgp:4// 000000003618: D3AC6000 18022719 D3AD0C4C 8D32E130
	ds_read_b128 v[124:127], v6 offset:4224                    // 000000003628: D9FE1080 7C000006
	ds_read_b128 v[128:131], v6 offset:4288                    // 000000003630: D9FE10C0 80000006
	v_mfma_scale_f32_16x16x128_f8f6f4 v[92:95], a[48:51], v[120:123], v[92:95], v25, v19 op_sel_hi:[0,0,0] cbsz:4 blgp:4// 000000003638: D3AC7000 18022719 D3AD0C5C 8D72F130
	buffer_load_dwordx4 a[16:19], v36, s[24:27], 0 offen offset:1024// 000000003648: E05C1400 80861024
	v_mfma_scale_f32_16x16x128_f8f6f4 v[80:83], a[52:55], v[112:115], v[80:83], v25, v19 op_sel_hi:[0,0,0] cbsz:4 blgp:4// 000000003650: D3AC6800 18022719 D3AD0C50 8D42E134
	ds_read_b128 v[132:135], v6 offset:4736                    // 000000003660: D9FE1280 84000006
	ds_read_b128 v[136:139], v6 offset:4800                    // 000000003668: D9FE12C0 88000006
	v_mfma_scale_f32_16x16x128_f8f6f4 v[96:99], a[52:55], v[120:123], v[96:99], v25, v19 op_sel_hi:[0,0,0] cbsz:4 blgp:4// 000000003670: D3AC7800 18022719 D3AD0C60 8D82F134
	buffer_load_dwordx4 a[20:23], v37, s[24:27], 0 offen offset:1024// 000000003680: E05C1400 80861425
	s_waitcnt vmcnt(8)                                         // 000000003688: BF8C0F78
	v_mfma_scale_f32_16x16x128_f8f6f4 v[84:87], a[56:59], v[112:115], v[84:87], v26, v19 op_sel_hi:[0,0,0] cbsz:4 blgp:4// 00000000368C: D3AC6000 1802271A D3AD0C54 8D52E138
	v_mfma_scale_f32_16x16x128_f8f6f4 v[100:103], a[56:59], v[120:123], v[100:103], v26, v19 op_sel_hi:[0,0,0] cbsz:4 blgp:4// 00000000369C: D3AC7000 1802271A D3AD0C64 8D92F138
	buffer_load_dwordx4 a[24:27], v38, s[24:27], 0 offen offset:1024// 0000000036AC: E05C1400 80861826
	v_mfma_scale_f32_16x16x128_f8f6f4 v[88:91], a[60:63], v[112:115], v[88:91], v26, v19 op_sel_hi:[0,0,0] cbsz:4 blgp:4// 0000000036B4: D3AC6800 1802271A D3AD0C58 8D62E13C
	v_mfma_scale_f32_16x16x128_f8f6f4 v[104:107], a[60:63], v[120:123], v[104:107], v26, v19 op_sel_hi:[0,0,0] cbsz:4 blgp:4// 0000000036C4: D3AC7800 1802271A D3AD0C68 8DA2F13C
	buffer_load_dwordx4 a[28:31], v39, s[24:27], 0 offen offset:1024// 0000000036D4: E05C1400 80861C27
	s_add_u32 s60, 0x200, s80                                  // 0000000036DC: 803C50FF 00000200
	s_cmp_lt_u32 s60, s81                                      // 0000000036E4: BF0A513C
	s_cselect_b32 s57, s57, 0                                  // 0000000036E8: 85398039
	s_cselect_b32 s3, s3, 0                                    // 0000000036EC: 85038003
	s_add_u32 s60, 0x200, s80                                  // 0000000036F0: 803C50FF 00000200
	s_cmp_lt_u32 s60, s81                                      // 0000000036F8: BF0A513C
	s_cselect_b32 s58, s58, 0                                  // 0000000036FC: 853A803A
	s_add_u32 s20, s57, s20                                    // 000000003700: 80141439
	s_addc_u32 s21, 0, s21                                     // 000000003704: 82151580
	s_add_u32 s28, s3, s28                                     // 000000003708: 801C1C03
	s_addc_u32 s29, 0, s29                                     // 00000000370C: 821D1D80
	s_add_u32 s24, s58, s24                                    // 000000003710: 8018183A
	s_addc_u32 s25, 0, s25                                     // 000000003714: 82191980
	s_add_u32 s92, s90, s92                                    // 000000003718: 805C5C5A
	s_addc_u32 s93, 0, s93                                     // 00000000371C: 825D5D80
	s_addk_i32 s80, 0x100                                      // 000000003720: B7500100
	s_cmp_lt_i32 s80, s81                                      // 000000003724: BF045150
	s_cbranch_scc0 label_03E6                                  // 000000003728: BF8400DB
	s_waitcnt vmcnt(6) lgkmcnt(0)                              // 00000000372C: BF8C0076
	s_barrier                                                  // 000000003730: BF8A0000
	v_mfma_scale_f32_16x16x128_f8f6f4 v[44:47], a[0:3], v[124:127], v[44:47], v23, v20 op_sel_hi:[0,0,0] cbsz:4 blgp:4// 000000003734: D3AC6000 00022917 D3AD0C2C 8CB2F900
	v_mfma_scale_f32_16x16x128_f8f6f4 v[60:63], a[0:3], v[132:135], v[60:63], v23, v20 op_sel_hi:[0,0,0] cbsz:4 blgp:4// 000000003744: D3AC7000 00022917 D3AD0C3C 8CF30900
	buffer_load_dwordx4 a[32:35], v36, s[92:95], 0 offen       // 000000003754: E05C1000 80972024
	buffer_load_dwordx4 v35, s[20:23], 0 offen lds             // 00000000375C: E05D1000 80050023
	s_add_u32 m0, 0, s51                                       // 000000003764: 807C3380
	v_mfma_scale_f32_16x16x128_f8f6f4 v[48:51], a[4:7], v[124:127], v[48:51], v23, v20 op_sel_hi:[0,0,0] cbsz:4 blgp:4// 000000003768: D3AC6800 00022917 D3AD0C30 8CC2F904
	v_mfma_scale_f32_16x16x128_f8f6f4 v[64:67], a[4:7], v[132:135], v[64:67], v23, v20 op_sel_hi:[0,0,0] cbsz:4 blgp:4// 000000003778: D3AC7800 00022917 D3AD0C40 8D030904
	buffer_load_dwordx4 a[36:39], v37, s[92:95], 0 offen       // 000000003788: E05C1000 80972425
	buffer_load_dword v19, v12, s[28:31], 0 offen              // 000000003790: E0501000 8007130C
	buffer_load_dword v27, v17, s[32:35], 0 offen              // 000000003798: E0501000 80081B11
	buffer_load_dword v28, v18, s[32:35], 0 offen              // 0000000037A0: E0501000 80081C12
	s_waitcnt vmcnt(10)                                        // 0000000037A8: BF8C0F7A
	v_mfma_scale_f32_16x16x128_f8f6f4 v[52:55], a[8:11], v[124:127], v[52:55], v24, v20 op_sel_hi:[0,0,0] cbsz:4 blgp:4// 0000000037AC: D3AC6000 00022918 D3AD0C34 8CD2F908
	v_mfma_scale_f32_16x16x128_f8f6f4 v[68:71], a[8:11], v[132:135], v[68:71], v24, v20 op_sel_hi:[0,0,0] cbsz:4 blgp:4// 0000000037BC: D3AC7000 00022918 D3AD0C44 8D130908
	buffer_load_dwordx4 a[40:43], v38, s[92:95], 0 offen       // 0000000037CC: E05C1000 80972826
	v_mfma_scale_f32_16x16x128_f8f6f4 v[56:59], a[12:15], v[124:127], v[56:59], v24, v20 op_sel_hi:[0,0,0] cbsz:4 blgp:4// 0000000037D4: D3AC6800 00022918 D3AD0C38 8CE2F90C
	v_mfma_scale_f32_16x16x128_f8f6f4 v[72:75], a[12:15], v[132:135], v[72:75], v24, v20 op_sel_hi:[0,0,0] cbsz:4 blgp:4// 0000000037E4: D3AC7800 00022918 D3AD0C48 8D23090C
	buffer_load_dwordx4 a[44:47], v39, s[92:95], 0 offen       // 0000000037F4: E05C1000 80972C27
	s_nop 0                                                    // 0000000037FC: BF800000
	s_waitcnt vmcnt(10)                                        // 000000003800: BF8C0F7A
	v_mfma_scale_f32_16x16x128_f8f6f4 v[44:47], a[16:19], v[128:131], v[44:47], v23, v20 op_sel_hi:[0,0,0] cbsz:4 blgp:4// 000000003804: D3AC6000 18022917 D3AD0C2C 8CB30110
	v_mfma_scale_f32_16x16x128_f8f6f4 v[60:63], a[16:19], v[136:139], v[60:63], v23, v20 op_sel_hi:[0,0,0] cbsz:4 blgp:4// 000000003814: D3AC7000 18022917 D3AD0C3C 8CF31110
	buffer_load_dwordx4 a[48:51], v36, s[92:95], 0 offen offset:1024// 000000003824: E05C1400 80973024
	v_mfma_scale_f32_16x16x128_f8f6f4 v[48:51], a[20:23], v[128:131], v[48:51], v23, v20 op_sel_hi:[0,0,0] cbsz:4 blgp:4// 00000000382C: D3AC6800 18022917 D3AD0C30 8CC30114
	v_mfma_scale_f32_16x16x128_f8f6f4 v[64:67], a[20:23], v[136:139], v[64:67], v23, v20 op_sel_hi:[0,0,0] cbsz:4 blgp:4// 00000000383C: D3AC7800 18022917 D3AD0C40 8D031114
	buffer_load_dwordx4 a[52:55], v37, s[92:95], 0 offen offset:1024// 00000000384C: E05C1400 80973425
	s_waitcnt vmcnt(10)                                        // 000000003854: BF8C0F7A
	v_mfma_scale_f32_16x16x128_f8f6f4 v[52:55], a[24:27], v[128:131], v[52:55], v24, v20 op_sel_hi:[0,0,0] cbsz:4 blgp:4// 000000003858: D3AC6000 18022918 D3AD0C34 8CD30118
	v_mfma_scale_f32_16x16x128_f8f6f4 v[68:71], a[24:27], v[136:139], v[68:71], v24, v20 op_sel_hi:[0,0,0] cbsz:4 blgp:4// 000000003868: D3AC7000 18022918 D3AD0C44 8D131118
	buffer_load_dwordx4 a[56:59], v38, s[92:95], 0 offen offset:1024// 000000003878: E05C1400 80973826
	v_mfma_scale_f32_16x16x128_f8f6f4 v[56:59], a[28:31], v[128:131], v[56:59], v24, v20 op_sel_hi:[0,0,0] cbsz:4 blgp:4// 000000003880: D3AC6800 18022918 D3AD0C38 8CE3011C
	v_mfma_scale_f32_16x16x128_f8f6f4 v[72:75], a[28:31], v[136:139], v[72:75], v24, v20 op_sel_hi:[0,0,0] cbsz:4 blgp:4// 000000003890: D3AC7800 18022918 D3AD0C48 8D23111C
	buffer_load_dwordx4 a[60:63], v39, s[92:95], 0 offen offset:1024// 0000000038A0: E05C1400 80973C27
	s_add_u32 s60, 0x100, s80                                  // 0000000038A8: 803C50FF 00000100
	s_cmp_lt_u32 s60, s81                                      // 0000000038B0: BF0A513C
	s_cselect_b32 s4, s4, 0                                    // 0000000038B4: 85048004
	s_add_u32 s32, s4, s32                                     // 0000000038B8: 80202004
	s_addc_u32 s33, 0, s33                                     // 0000000038BC: 82212180
	s_waitcnt vmcnt(6)                                         // 0000000038C0: BF8C0F76
	s_barrier                                                  // 0000000038C4: BF8A0000
	v_mfma_scale_f32_16x16x128_f8f6f4 v[76:79], a[32:35], v[124:127], v[76:79], v27, v20 op_sel_hi:[0,0,0] cbsz:4 blgp:4// 0000000038C8: D3AC6000 0002291B D3AD0C4C 8D32F920
	v_mfma_scale_f32_16x16x128_f8f6f4 v[92:95], a[32:35], v[132:135], v[92:95], v27, v20 op_sel_hi:[0,0,0] cbsz:4 blgp:4// 0000000038D8: D3AC7000 0002291B D3AD0C5C 8D730920
	buffer_load_dwordx4 a[0:3], v36, s[24:27], 0 offen         // 0000000038E8: E05C1000 80860024
	buffer_load_dword v21, v15, s[32:35], 0 offen              // 0000000038F0: E0501000 8008150F
	buffer_load_dword v22, v16, s[32:35], 0 offen              // 0000000038F8: E0501000 80081610
	v_mfma_scale_f32_16x16x128_f8f6f4 v[80:83], a[36:39], v[124:127], v[80:83], v27, v20 op_sel_hi:[0,0,0] cbsz:4 blgp:4// 000000003900: D3AC6800 0002291B D3AD0C50 8D42F924
	v_mfma_scale_f32_16x16x128_f8f6f4 v[96:99], a[36:39], v[132:135], v[96:99], v27, v20 op_sel_hi:[0,0,0] cbsz:4 blgp:4// 000000003910: D3AC7800 0002291B D3AD0C60 8D830924
	buffer_load_dwordx4 a[4:7], v37, s[24:27], 0 offen         // 000000003920: E05C1000 80860425
	s_waitcnt vmcnt(8)                                         // 000000003928: BF8C0F78
	v_mfma_scale_f32_16x16x128_f8f6f4 v[84:87], a[40:43], v[124:127], v[84:87], v28, v20 op_sel_hi:[0,0,0] cbsz:4 blgp:4// 00000000392C: D3AC6000 0002291C D3AD0C54 8D52F928
	v_mfma_scale_f32_16x16x128_f8f6f4 v[100:103], a[40:43], v[132:135], v[100:103], v28, v20 op_sel_hi:[0,0,0] cbsz:4 blgp:4// 00000000393C: D3AC7000 0002291C D3AD0C64 8D930928
	buffer_load_dwordx4 a[8:11], v38, s[24:27], 0 offen        // 00000000394C: E05C1000 80860826
	v_mfma_scale_f32_16x16x128_f8f6f4 v[88:91], a[44:47], v[124:127], v[88:91], v28, v20 op_sel_hi:[0,0,0] cbsz:4 blgp:4// 000000003954: D3AC6800 0002291C D3AD0C58 8D62F92C
	v_mfma_scale_f32_16x16x128_f8f6f4 v[104:107], a[44:47], v[132:135], v[104:107], v28, v20 op_sel_hi:[0,0,0] cbsz:4 blgp:4// 000000003964: D3AC7800 0002291C D3AD0C68 8DA3092C
	buffer_load_dwordx4 a[12:15], v39, s[24:27], 0 offen       // 000000003974: E05C1000 80860C27
	s_waitcnt vmcnt(8)                                         // 00000000397C: BF8C0F78
	v_mfma_scale_f32_16x16x128_f8f6f4 v[76:79], a[48:51], v[128:131], v[76:79], v27, v20 op_sel_hi:[0,0,0] cbsz:4 blgp:4// 000000003980: D3AC6000 1802291B D3AD0C4C 8D330130
	ds_read_b128 v[108:111], v6                                // 000000003990: D9FE0000 6C000006
	ds_read_b128 v[112:115], v6 offset:64                      // 000000003998: D9FE0040 70000006
	v_mfma_scale_f32_16x16x128_f8f6f4 v[92:95], a[48:51], v[136:139], v[92:95], v27, v20 op_sel_hi:[0,0,0] cbsz:4 blgp:4// 0000000039A0: D3AC7000 1802291B D3AD0C5C 8D731130
	buffer_load_dwordx4 a[16:19], v36, s[24:27], 0 offen offset:1024// 0000000039B0: E05C1400 80861024
	v_mfma_scale_f32_16x16x128_f8f6f4 v[80:83], a[52:55], v[128:131], v[80:83], v27, v20 op_sel_hi:[0,0,0] cbsz:4 blgp:4// 0000000039B8: D3AC6800 1802291B D3AD0C50 8D430134
	ds_read_b128 v[116:119], v6 offset:512                     // 0000000039C8: D9FE0200 74000006
	ds_read_b128 v[120:123], v6 offset:576                     // 0000000039D0: D9FE0240 78000006
	v_mfma_scale_f32_16x16x128_f8f6f4 v[96:99], a[52:55], v[136:139], v[96:99], v27, v20 op_sel_hi:[0,0,0] cbsz:4 blgp:4// 0000000039D8: D3AC7800 1802291B D3AD0C60 8D831134
	buffer_load_dwordx4 a[20:23], v37, s[24:27], 0 offen offset:1024// 0000000039E8: E05C1400 80861425
	s_waitcnt vmcnt(8)                                         // 0000000039F0: BF8C0F78
	v_mfma_scale_f32_16x16x128_f8f6f4 v[84:87], a[56:59], v[128:131], v[84:87], v28, v20 op_sel_hi:[0,0,0] cbsz:4 blgp:4// 0000000039F4: D3AC6000 1802291C D3AD0C54 8D530138
	v_mfma_scale_f32_16x16x128_f8f6f4 v[100:103], a[56:59], v[136:139], v[100:103], v28, v20 op_sel_hi:[0,0,0] cbsz:4 blgp:4// 000000003A04: D3AC7000 1802291C D3AD0C64 8D931138
	buffer_load_dwordx4 a[24:27], v38, s[24:27], 0 offen offset:1024// 000000003A14: E05C1400 80861826
	v_mfma_scale_f32_16x16x128_f8f6f4 v[88:91], a[60:63], v[128:131], v[88:91], v28, v20 op_sel_hi:[0,0,0] cbsz:4 blgp:4// 000000003A1C: D3AC6800 1802291C D3AD0C58 8D63013C
	v_mfma_scale_f32_16x16x128_f8f6f4 v[104:107], a[60:63], v[136:139], v[104:107], v28, v20 op_sel_hi:[0,0,0] cbsz:4 blgp:4// 000000003A2C: D3AC7800 1802291C D3AD0C68 8DA3113C
	buffer_load_dwordx4 a[28:31], v39, s[24:27], 0 offen offset:1024// 000000003A3C: E05C1400 80861C27
	s_add_u32 s60, 0x200, s80                                  // 000000003A44: 803C50FF 00000200
	s_cmp_lt_u32 s60, s81                                      // 000000003A4C: BF0A513C
	s_cselect_b32 s57, s57, 0                                  // 000000003A50: 85398039
	s_cselect_b32 s3, s3, 0                                    // 000000003A54: 85038003
	s_add_u32 s60, 0x200, s80                                  // 000000003A58: 803C50FF 00000200
	s_cmp_lt_u32 s60, s81                                      // 000000003A60: BF0A513C
	s_cselect_b32 s58, s58, 0                                  // 000000003A64: 853A803A
	s_add_u32 s20, s57, s20                                    // 000000003A68: 80141439
	s_addc_u32 s21, 0, s21                                     // 000000003A6C: 82151580
	s_add_u32 s28, s3, s28                                     // 000000003A70: 801C1C03
	s_addc_u32 s29, 0, s29                                     // 000000003A74: 821D1D80
	s_add_u32 s24, s58, s24                                    // 000000003A78: 8018183A
	s_addc_u32 s25, 0, s25                                     // 000000003A7C: 82191980
	s_add_u32 s92, s90, s92                                    // 000000003A80: 805C5C5A
	s_addc_u32 s93, 0, s93                                     // 000000003A84: 825D5D80
	s_addk_i32 s80, 0x100                                      // 000000003A88: B7500100
	s_cmp_lt_i32 s80, s81                                      // 000000003A8C: BF045150
	s_cbranch_scc0 label_03E6                                  // 000000003A90: BF840001
	s_branch label_0231                                        // 000000003A94: BF82FE4B

0000000000003a98 <label_03E6>:
	s_mov_b32 s20, 0                                           // 000000003A98: BE940080
	s_cmp_lt_u32 s89, s66                                      // 000000003A9C: BF0A4259
	s_cselect_b32 s60, 0, 1                                    // 000000003AA0: 853C8180
	s_lshl1_add_u32 s20, s20, s60                              // 000000003AA4: 97143C14
	s_cmp_lt_u32 s88, s66                                      // 000000003AA8: BF0A4258
	s_cselect_b32 s60, 0, 1                                    // 000000003AAC: 853C8180
	s_lshl1_add_u32 s20, s20, s60                              // 000000003AB0: 97143C14
	s_cmp_lt_u32 s87, s66                                      // 000000003AB4: BF0A4257
	s_cselect_b32 s60, 0, 1                                    // 000000003AB8: 853C8180
	s_lshl1_add_u32 s20, s20, s60                              // 000000003ABC: 97143C14
	s_cmp_lt_u32 s86, s66                                      // 000000003AC0: BF0A4256
	s_cselect_b32 s60, 0, 1                                    // 000000003AC4: 853C8180
	s_lshl1_add_u32 s20, s20, s60                              // 000000003AC8: 97143C14
	s_cmp_lt_u32 s85, s66                                      // 000000003ACC: BF0A4255
	s_cselect_b32 s60, 0, 1                                    // 000000003AD0: 853C8180
	s_lshl1_add_u32 s20, s20, s60                              // 000000003AD4: 97143C14
	s_cmp_lt_u32 s84, s66                                      // 000000003AD8: BF0A4254
	s_cselect_b32 s60, 0, 1                                    // 000000003ADC: 853C8180
	s_lshl1_add_u32 s20, s20, s60                              // 000000003AE0: 97143C14
	s_cmp_lt_u32 s83, s66                                      // 000000003AE4: BF0A4253
	s_cselect_b32 s60, 0, 1                                    // 000000003AE8: 853C8180
	s_lshl1_add_u32 s20, s20, s60                              // 000000003AEC: 97143C14
	s_cmp_lt_u32 s82, s66                                      // 000000003AF0: BF0A4252
	s_cselect_b32 s60, 0, 1                                    // 000000003AF4: 853C8180
	s_lshl1_add_u32 s20, s20, s60                              // 000000003AF8: 97143C14
	v_mov_b32_e32 v1, 0xbfcc4231                               // 000000003AFC: 7E0202FF BFCC4231
	s_waitcnt vmcnt(6)                                         // 000000003B04: BF8C0F76
	buffer_load_dwordx4 a[0:3], v40, s[12:15], 0 offen         // 000000003B08: E05C1000 80830028
	v_mul_f32_e64 v2, -v44, s6                                 // 000000003B10: D1050002 20000D2C
	v_mul_f32_e64 v3, -v45, s6                                 // 000000003B18: D1050003 20000D2D
	v_mul_f32_e64 v4, -v46, s6                                 // 000000003B20: D1050004 20000D2E
	v_mul_f32_e64 v5, -v47, s6                                 // 000000003B28: D1050005 20000D2F
	v_exp_f32_e32 v2, v2                                       // 000000003B30: 7E044102
	v_exp_f32_e32 v3, v3                                       // 000000003B34: 7E064103
	v_exp_f32_e32 v4, v4                                       // 000000003B38: 7E084104
	v_exp_f32_e32 v5, v5                                       // 000000003B3C: 7E0A4105
	buffer_load_dwordx4 a[4:7], v41, s[12:15], 0 offen         // 000000003B40: E05C1000 80830429
	v_add_f32_e64 v2, v2, 1.0                                  // 000000003B48: D1010002 0001E502
	v_add_f32_e64 v3, v3, 1.0                                  // 000000003B50: D1010003 0001E503
	v_add_f32_e64 v4, v4, 1.0                                  // 000000003B58: D1010004 0001E504
	v_add_f32_e64 v5, v5, 1.0                                  // 000000003B60: D1010005 0001E505
	v_rcp_f32_e32 v2, v2                                       // 000000003B68: 7E044502
	v_rcp_f32_e32 v3, v3                                       // 000000003B6C: 7E064503
	v_rcp_f32_e32 v4, v4                                       // 000000003B70: 7E084504
	v_rcp_f32_e32 v5, v5                                       // 000000003B74: 7E0A4505
	v_mul_f32_e32 v44, v44, v2                                 // 000000003B78: 0A58052C
	v_mul_f32_e32 v45, v45, v3                                 // 000000003B7C: 0A5A072D
	v_mul_f32_e32 v46, v46, v4                                 // 000000003B80: 0A5C092E
	v_mul_f32_e32 v47, v47, v5                                 // 000000003B84: 0A5E0B2F
	v_mul_f32_e32 v44, v44, v76                                // 000000003B88: 0A58992C
	v_mul_f32_e32 v45, v45, v77                                // 000000003B8C: 0A5A9B2D
	v_mul_f32_e32 v46, v46, v78                                // 000000003B90: 0A5C9D2E
	v_mul_f32_e32 v47, v47, v79                                // 000000003B94: 0A5E9F2F
	s_waitcnt vmcnt(6)                                         // 000000003B98: BF8C0F76
	buffer_load_dwordx4 a[8:11], v42, s[12:15], 0 offen        // 000000003B9C: E05C1000 8083082A
	v_mul_f32_e64 v2, -v48, s6                                 // 000000003BA4: D1050002 20000D30
	v_mul_f32_e64 v3, -v49, s6                                 // 000000003BAC: D1050003 20000D31
	v_mul_f32_e64 v4, -v50, s6                                 // 000000003BB4: D1050004 20000D32
	v_mul_f32_e64 v5, -v51, s6                                 // 000000003BBC: D1050005 20000D33
	v_exp_f32_e32 v2, v2                                       // 000000003BC4: 7E044102
	v_exp_f32_e32 v3, v3                                       // 000000003BC8: 7E064103
	v_exp_f32_e32 v4, v4                                       // 000000003BCC: 7E084104
	v_exp_f32_e32 v5, v5                                       // 000000003BD0: 7E0A4105
	buffer_load_dwordx4 a[12:15], v43, s[12:15], 0 offen       // 000000003BD4: E05C1000 80830C2B
	v_add_f32_e64 v2, v2, 1.0                                  // 000000003BDC: D1010002 0001E502
	v_add_f32_e64 v3, v3, 1.0                                  // 000000003BE4: D1010003 0001E503
	v_add_f32_e64 v4, v4, 1.0                                  // 000000003BEC: D1010004 0001E504
	v_add_f32_e64 v5, v5, 1.0                                  // 000000003BF4: D1010005 0001E505
	v_rcp_f32_e32 v2, v2                                       // 000000003BFC: 7E044502
	v_rcp_f32_e32 v3, v3                                       // 000000003C00: 7E064503
	v_rcp_f32_e32 v4, v4                                       // 000000003C04: 7E084504
	v_rcp_f32_e32 v5, v5                                       // 000000003C08: 7E0A4505
	v_mul_f32_e32 v48, v48, v2                                 // 000000003C0C: 0A600530
	v_mul_f32_e32 v49, v49, v3                                 // 000000003C10: 0A620731
	v_mul_f32_e32 v50, v50, v4                                 // 000000003C14: 0A640932
	v_mul_f32_e32 v51, v51, v5                                 // 000000003C18: 0A660B33
	v_mul_f32_e32 v48, v48, v80                                // 000000003C1C: 0A60A130
	v_mul_f32_e32 v49, v49, v81                                // 000000003C20: 0A62A331
	v_mul_f32_e32 v50, v50, v82                                // 000000003C24: 0A64A532
	v_mul_f32_e32 v51, v51, v83                                // 000000003C28: 0A66A733
	s_waitcnt vmcnt(6)                                         // 000000003C2C: BF8C0F76
	buffer_load_dwordx4 a[16:19], v40, s[12:15], 0 offen offset:1024// 000000003C30: E05C1400 80831028
	v_mul_f32_e64 v2, -v52, s6                                 // 000000003C38: D1050002 20000D34
	v_mul_f32_e64 v3, -v53, s6                                 // 000000003C40: D1050003 20000D35
	v_mul_f32_e64 v4, -v54, s6                                 // 000000003C48: D1050004 20000D36
	v_mul_f32_e64 v5, -v55, s6                                 // 000000003C50: D1050005 20000D37
	v_exp_f32_e32 v2, v2                                       // 000000003C58: 7E044102
	v_exp_f32_e32 v3, v3                                       // 000000003C5C: 7E064103
	v_exp_f32_e32 v4, v4                                       // 000000003C60: 7E084104
	v_exp_f32_e32 v5, v5                                       // 000000003C64: 7E0A4105
	buffer_load_dwordx4 a[20:23], v41, s[12:15], 0 offen offset:1024// 000000003C68: E05C1400 80831429
	v_add_f32_e64 v2, v2, 1.0                                  // 000000003C70: D1010002 0001E502
	v_add_f32_e64 v3, v3, 1.0                                  // 000000003C78: D1010003 0001E503
	v_add_f32_e64 v4, v4, 1.0                                  // 000000003C80: D1010004 0001E504
	v_add_f32_e64 v5, v5, 1.0                                  // 000000003C88: D1010005 0001E505
	v_rcp_f32_e32 v2, v2                                       // 000000003C90: 7E044502
	v_rcp_f32_e32 v3, v3                                       // 000000003C94: 7E064503
	v_rcp_f32_e32 v4, v4                                       // 000000003C98: 7E084504
	v_rcp_f32_e32 v5, v5                                       // 000000003C9C: 7E0A4505
	v_mul_f32_e32 v52, v52, v2                                 // 000000003CA0: 0A680534
	v_mul_f32_e32 v53, v53, v3                                 // 000000003CA4: 0A6A0735
	v_mul_f32_e32 v54, v54, v4                                 // 000000003CA8: 0A6C0936
	v_mul_f32_e32 v55, v55, v5                                 // 000000003CAC: 0A6E0B37
	v_mul_f32_e32 v52, v52, v84                                // 000000003CB0: 0A68A934
	v_mul_f32_e32 v53, v53, v85                                // 000000003CB4: 0A6AAB35
	v_mul_f32_e32 v54, v54, v86                                // 000000003CB8: 0A6CAD36
	v_mul_f32_e32 v55, v55, v87                                // 000000003CBC: 0A6EAF37
	s_waitcnt vmcnt(6)                                         // 000000003CC0: BF8C0F76
	buffer_load_dwordx4 a[24:27], v42, s[12:15], 0 offen offset:1024// 000000003CC4: E05C1400 8083182A
	v_mul_f32_e64 v2, -v56, s6                                 // 000000003CCC: D1050002 20000D38
	v_mul_f32_e64 v3, -v57, s6                                 // 000000003CD4: D1050003 20000D39
	v_mul_f32_e64 v4, -v58, s6                                 // 000000003CDC: D1050004 20000D3A
	v_mul_f32_e64 v5, -v59, s6                                 // 000000003CE4: D1050005 20000D3B
	v_exp_f32_e32 v2, v2                                       // 000000003CEC: 7E044102
	v_exp_f32_e32 v3, v3                                       // 000000003CF0: 7E064103
	v_exp_f32_e32 v4, v4                                       // 000000003CF4: 7E084104
	v_exp_f32_e32 v5, v5                                       // 000000003CF8: 7E0A4105
	buffer_load_dwordx4 a[28:31], v43, s[12:15], 0 offen offset:1024// 000000003CFC: E05C1400 80831C2B
	v_add_f32_e64 v2, v2, 1.0                                  // 000000003D04: D1010002 0001E502
	v_add_f32_e64 v3, v3, 1.0                                  // 000000003D0C: D1010003 0001E503
	v_add_f32_e64 v4, v4, 1.0                                  // 000000003D14: D1010004 0001E504
	v_add_f32_e64 v5, v5, 1.0                                  // 000000003D1C: D1010005 0001E505
	v_rcp_f32_e32 v2, v2                                       // 000000003D24: 7E044502
	v_rcp_f32_e32 v3, v3                                       // 000000003D28: 7E064503
	v_rcp_f32_e32 v4, v4                                       // 000000003D2C: 7E084504
	v_rcp_f32_e32 v5, v5                                       // 000000003D30: 7E0A4505
	v_mul_f32_e32 v56, v56, v2                                 // 000000003D34: 0A700538
	v_mul_f32_e32 v57, v57, v3                                 // 000000003D38: 0A720739
	v_mul_f32_e32 v58, v58, v4                                 // 000000003D3C: 0A74093A
	v_mul_f32_e32 v59, v59, v5                                 // 000000003D40: 0A760B3B
	v_mul_f32_e32 v56, v56, v88                                // 000000003D44: 0A70B138
	v_mul_f32_e32 v57, v57, v89                                // 000000003D48: 0A72B339
	v_mul_f32_e32 v58, v58, v90                                // 000000003D4C: 0A74B53A
	v_mul_f32_e32 v59, v59, v91                                // 000000003D50: 0A76B73B
	s_waitcnt vmcnt(6)                                         // 000000003D54: BF8C0F76
	v_mul_f32_e64 v2, -v60, s6                                 // 000000003D58: D1050002 20000D3C
	v_mul_f32_e64 v3, -v61, s6                                 // 000000003D60: D1050003 20000D3D
	v_mul_f32_e64 v4, -v62, s6                                 // 000000003D68: D1050004 20000D3E
	v_mul_f32_e64 v5, -v63, s6                                 // 000000003D70: D1050005 20000D3F
	v_exp_f32_e32 v2, v2                                       // 000000003D78: 7E044102
	v_exp_f32_e32 v3, v3                                       // 000000003D7C: 7E064103
	v_exp_f32_e32 v4, v4                                       // 000000003D80: 7E084104
	v_exp_f32_e32 v5, v5                                       // 000000003D84: 7E0A4105
	v_add_f32_e64 v2, v2, 1.0                                  // 000000003D88: D1010002 0001E502
	v_add_f32_e64 v3, v3, 1.0                                  // 000000003D90: D1010003 0001E503
	v_add_f32_e64 v4, v4, 1.0                                  // 000000003D98: D1010004 0001E504
	v_add_f32_e64 v5, v5, 1.0                                  // 000000003DA0: D1010005 0001E505
	v_rcp_f32_e32 v2, v2                                       // 000000003DA8: 7E044502
	v_rcp_f32_e32 v3, v3                                       // 000000003DAC: 7E064503
	v_rcp_f32_e32 v4, v4                                       // 000000003DB0: 7E084504
	v_rcp_f32_e32 v5, v5                                       // 000000003DB4: 7E0A4505
	v_mul_f32_e32 v60, v60, v2                                 // 000000003DB8: 0A78053C
	v_mul_f32_e32 v61, v61, v3                                 // 000000003DBC: 0A7A073D
	v_mul_f32_e32 v62, v62, v4                                 // 000000003DC0: 0A7C093E
	v_mul_f32_e32 v63, v63, v5                                 // 000000003DC4: 0A7E0B3F
	v_mul_f32_e32 v60, v60, v92                                // 000000003DC8: 0A78B93C
	v_mul_f32_e32 v61, v61, v93                                // 000000003DCC: 0A7ABB3D
	v_mul_f32_e32 v62, v62, v94                                // 000000003DD0: 0A7CBD3E
	v_mul_f32_e32 v63, v63, v95                                // 000000003DD4: 0A7EBF3F
	s_waitcnt vmcnt(6)                                         // 000000003DD8: BF8C0F76
	v_mul_f32_e64 v2, -v64, s6                                 // 000000003DDC: D1050002 20000D40
	v_mul_f32_e64 v3, -v65, s6                                 // 000000003DE4: D1050003 20000D41
	v_mul_f32_e64 v4, -v66, s6                                 // 000000003DEC: D1050004 20000D42
	v_mul_f32_e64 v5, -v67, s6                                 // 000000003DF4: D1050005 20000D43
	v_exp_f32_e32 v2, v2                                       // 000000003DFC: 7E044102
	v_exp_f32_e32 v3, v3                                       // 000000003E00: 7E064103
	v_exp_f32_e32 v4, v4                                       // 000000003E04: 7E084104
	v_exp_f32_e32 v5, v5                                       // 000000003E08: 7E0A4105
	v_add_f32_e64 v2, v2, 1.0                                  // 000000003E0C: D1010002 0001E502
	v_add_f32_e64 v3, v3, 1.0                                  // 000000003E14: D1010003 0001E503
	v_add_f32_e64 v4, v4, 1.0                                  // 000000003E1C: D1010004 0001E504
	v_add_f32_e64 v5, v5, 1.0                                  // 000000003E24: D1010005 0001E505
	v_rcp_f32_e32 v2, v2                                       // 000000003E2C: 7E044502
	v_rcp_f32_e32 v3, v3                                       // 000000003E30: 7E064503
	v_rcp_f32_e32 v4, v4                                       // 000000003E34: 7E084504
	v_rcp_f32_e32 v5, v5                                       // 000000003E38: 7E0A4505
	v_mul_f32_e32 v64, v64, v2                                 // 000000003E3C: 0A800540
	v_mul_f32_e32 v65, v65, v3                                 // 000000003E40: 0A820741
	v_mul_f32_e32 v66, v66, v4                                 // 000000003E44: 0A840942
	v_mul_f32_e32 v67, v67, v5                                 // 000000003E48: 0A860B43
	v_mul_f32_e32 v64, v64, v96                                // 000000003E4C: 0A80C140
	v_mul_f32_e32 v65, v65, v97                                // 000000003E50: 0A82C341
	v_mul_f32_e32 v66, v66, v98                                // 000000003E54: 0A84C542
	v_mul_f32_e32 v67, v67, v99                                // 000000003E58: 0A86C743
	s_waitcnt vmcnt(6)                                         // 000000003E5C: BF8C0F76
	v_mul_f32_e64 v2, -v68, s6                                 // 000000003E60: D1050002 20000D44
	v_mul_f32_e64 v3, -v69, s6                                 // 000000003E68: D1050003 20000D45
	v_mul_f32_e64 v4, -v70, s6                                 // 000000003E70: D1050004 20000D46
	v_mul_f32_e64 v5, -v71, s6                                 // 000000003E78: D1050005 20000D47
	v_exp_f32_e32 v2, v2                                       // 000000003E80: 7E044102
	v_exp_f32_e32 v3, v3                                       // 000000003E84: 7E064103
	v_exp_f32_e32 v4, v4                                       // 000000003E88: 7E084104
	v_exp_f32_e32 v5, v5                                       // 000000003E8C: 7E0A4105
	v_add_f32_e64 v2, v2, 1.0                                  // 000000003E90: D1010002 0001E502
	v_add_f32_e64 v3, v3, 1.0                                  // 000000003E98: D1010003 0001E503
	v_add_f32_e64 v4, v4, 1.0                                  // 000000003EA0: D1010004 0001E504
	v_add_f32_e64 v5, v5, 1.0                                  // 000000003EA8: D1010005 0001E505
	v_rcp_f32_e32 v2, v2                                       // 000000003EB0: 7E044502
	v_rcp_f32_e32 v3, v3                                       // 000000003EB4: 7E064503
	v_rcp_f32_e32 v4, v4                                       // 000000003EB8: 7E084504
	v_rcp_f32_e32 v5, v5                                       // 000000003EBC: 7E0A4505
	v_mul_f32_e32 v68, v68, v2                                 // 000000003EC0: 0A880544
	v_mul_f32_e32 v69, v69, v3                                 // 000000003EC4: 0A8A0745
	v_mul_f32_e32 v70, v70, v4                                 // 000000003EC8: 0A8C0946
	v_mul_f32_e32 v71, v71, v5                                 // 000000003ECC: 0A8E0B47
	v_mul_f32_e32 v68, v68, v100                               // 000000003ED0: 0A88C944
	v_mul_f32_e32 v69, v69, v101                               // 000000003ED4: 0A8ACB45
	v_mul_f32_e32 v70, v70, v102                               // 000000003ED8: 0A8CCD46
	v_mul_f32_e32 v71, v71, v103                               // 000000003EDC: 0A8ECF47
	s_waitcnt vmcnt(6)                                         // 000000003EE0: BF8C0F76
	v_mul_f32_e64 v2, -v72, s6                                 // 000000003EE4: D1050002 20000D48
	v_mul_f32_e64 v3, -v73, s6                                 // 000000003EEC: D1050003 20000D49
	v_mul_f32_e64 v4, -v74, s6                                 // 000000003EF4: D1050004 20000D4A
	v_mul_f32_e64 v5, -v75, s6                                 // 000000003EFC: D1050005 20000D4B
	v_exp_f32_e32 v2, v2                                       // 000000003F04: 7E044102
	v_exp_f32_e32 v3, v3                                       // 000000003F08: 7E064103
	v_exp_f32_e32 v4, v4                                       // 000000003F0C: 7E084104
	v_exp_f32_e32 v5, v5                                       // 000000003F10: 7E0A4105
	v_add_f32_e64 v2, v2, 1.0                                  // 000000003F14: D1010002 0001E502
	v_add_f32_e64 v3, v3, 1.0                                  // 000000003F1C: D1010003 0001E503
	v_add_f32_e64 v4, v4, 1.0                                  // 000000003F24: D1010004 0001E504
	v_add_f32_e64 v5, v5, 1.0                                  // 000000003F2C: D1010005 0001E505
	v_rcp_f32_e32 v2, v2                                       // 000000003F34: 7E044502
	v_rcp_f32_e32 v3, v3                                       // 000000003F38: 7E064503
	v_rcp_f32_e32 v4, v4                                       // 000000003F3C: 7E084504
	v_rcp_f32_e32 v5, v5                                       // 000000003F40: 7E0A4505
	v_mul_f32_e32 v72, v72, v2                                 // 000000003F44: 0A900548
	v_mul_f32_e32 v73, v73, v3                                 // 000000003F48: 0A920749
	v_mul_f32_e32 v74, v74, v4                                 // 000000003F4C: 0A94094A
	v_mul_f32_e32 v75, v75, v5                                 // 000000003F50: 0A960B4B
	v_mul_f32_e32 v72, v72, v104                               // 000000003F54: 0A90D148
	v_mul_f32_e32 v73, v73, v105                               // 000000003F58: 0A92D349
	v_mul_f32_e32 v74, v74, v106                               // 000000003F5C: 0A94D54A
	v_mul_f32_e32 v75, v75, v107                               // 000000003F60: 0A96D74B
	v_lshlrev_b32_e32 v2, 2, v0                                // 000000003F64: 24040082
	s_mul_i32 s60, s82, s71                                    // 000000003F68: 923C4752
	v_add_u32_e64 v92, v2, s60                                 // 000000003F6C: D134005C 00007902
	v_mov_b32_e32 v93, 0                                       // 000000003F74: 7EBA0280
	s_mul_i32 s60, s83, s71                                    // 000000003F78: 923C4753
	v_add_u32_e64 v94, v2, s60                                 // 000000003F7C: D134005E 00007902
	v_mov_b32_e32 v95, 0                                       // 000000003F84: 7EBE0280
	s_mul_i32 s60, s84, s71                                    // 000000003F88: 923C4754
	v_add_u32_e64 v96, v2, s60                                 // 000000003F8C: D1340060 00007902
	v_mov_b32_e32 v97, 0                                       // 000000003F94: 7EC20280
	s_mul_i32 s60, s85, s71                                    // 000000003F98: 923C4755
	v_add_u32_e64 v98, v2, s60                                 // 000000003F9C: D1340062 00007902
	v_mov_b32_e32 v99, 0                                       // 000000003FA4: 7EC60280
	s_mul_i32 s60, s86, s71                                    // 000000003FA8: 923C4756
	v_add_u32_e64 v100, v2, s60                                // 000000003FAC: D1340064 00007902
	v_mov_b32_e32 v101, 0                                      // 000000003FB4: 7ECA0280
	s_mul_i32 s60, s87, s71                                    // 000000003FB8: 923C4757
	v_add_u32_e64 v102, v2, s60                                // 000000003FBC: D1340066 00007902
	v_mov_b32_e32 v103, 0                                      // 000000003FC4: 7ECE0280
	s_mul_i32 s60, s88, s71                                    // 000000003FC8: 923C4758
	v_add_u32_e64 v104, v2, s60                                // 000000003FCC: D1340068 00007902
	v_mov_b32_e32 v105, 0                                      // 000000003FD4: 7ED20280
	s_mul_i32 s60, s89, s71                                    // 000000003FD8: 923C4759
	v_add_u32_e64 v106, v2, s60                                // 000000003FDC: D134006A 00007902
	v_mov_b32_e32 v107, 0                                      // 000000003FE4: 7ED60280
	buffer_load_dword v21, v10, s[16:19], 0 offen              // 000000003FE8: E0501000 8004150A
	buffer_load_dword v22, v11, s[16:19], 0 offen              // 000000003FF0: E0501000 8004160B
	v_mov_b32_e32 v31, 0x358637bd                              // 000000003FF8: 7E3E02FF 358637BD
	v_mov_b32_e32 v32, 0x358637bd                              // 000000004000: 7E4002FF 358637BD
	v_max3_f32 v31, |v44|, |v45|, v31                          // 000000004008: D1D3031F 047E5B2C
	v_max3_f32 v31, |v46|, |v47|, v31                          // 000000004010: D1D3031F 047E5F2E
	v_max3_f32 v31, |v48|, |v49|, v31                          // 000000004018: D1D3031F 047E6330
	v_max3_f32 v31, |v50|, |v51|, v31                          // 000000004020: D1D3031F 047E6732
	v_max3_f32 v32, |v60|, |v61|, v32                          // 000000004028: D1D30320 04827B3C
	v_max3_f32 v32, |v62|, |v63|, v32                          // 000000004030: D1D30320 04827F3E
	v_max3_f32 v32, |v64|, |v65|, v32                          // 000000004038: D1D30320 04828340
	v_max3_f32 v32, |v66|, |v67|, v32                          // 000000004040: D1D30320 04828742
	v_mov_b32_e32 v2, v31                                      // 000000004048: 7E04031F
	s_nop 1                                                    // 00000000404C: BF800001
	v_permlane32_swap_b32_e32 v2, v31                          // 000000004050: 7E04B51F
	v_max_f32_e32 v31, v2, v31                                 // 000000004054: 163E3F02
	v_mov_b32_e32 v2, v31                                      // 000000004058: 7E04031F
	s_nop 1                                                    // 00000000405C: BF800001
	v_permlane16_swap_b32_e32 v2, v31                          // 000000004060: 7E04B31F
	v_max_f32_e32 v31, v2, v31                                 // 000000004064: 163E3F02
	v_mov_b32_e32 v2, v32                                      // 000000004068: 7E040320
	s_nop 1                                                    // 00000000406C: BF800001
	v_permlane32_swap_b32_e32 v2, v32                          // 000000004070: 7E04B520
	v_max_f32_e32 v32, v2, v32                                 // 000000004074: 16404102
	v_mov_b32_e32 v2, v32                                      // 000000004078: 7E040320
	s_nop 1                                                    // 00000000407C: BF800001
	v_permlane16_swap_b32_e32 v2, v32                          // 000000004080: 7E04B320
	v_max_f32_e32 v32, v2, v32                                 // 000000004084: 16404102
	v_mov_b32_e32 v2, 0x3e800000                               // 000000004088: 7E0402FF 3E800000
	v_mul_f32_e32 v31, v2, v31                                 // 000000004090: 0A3E3F02
	v_mul_f32_e32 v32, v2, v32                                 // 000000004094: 0A404102
	v_mov_b32_e32 v1, 0x7fff0000                               // 000000004098: 7E0202FF 7FFF0000
	v_mov_b32_e32 v5, 0x7fbfffff                               // 0000000040A0: 7E0A02FF 7FBFFFFF
	v_bfe_u32 v2, v31, 22, 1                                   // 0000000040A8: D1C80002 02052D1F
	v_and_b32_e32 v3, v31, v5                                  // 0000000040B0: 26060B1F
	v_cmp_eq_u32_e64 s[60:61], v3, 0                           // 0000000040B4: D0CA003C 00010103
	v_cndmask_b32_e64 v4, 1, 0, s[60:61]                       // 0000000040BC: D1000004 00F10081
	v_and_b32_e32 v4, v4, v2                                   // 0000000040C4: 26080504
	v_bfe_u32 v5, v31, 23, 8                                   // 0000000040C8: D1C80005 02212F1F
	v_add_u32_e32 v5, v5, v4                                   // 0000000040D0: 680A0905
	v_cmp_u_f32_e64 s[60:61], v31, v31                         // 0000000040D4: D048003C 00023F1F
	v_lshlrev_b32_e32 v31, 23, v5                              // 0000000040DC: 243E0A97
	v_cndmask_b32_e64 v31, v31, v1, s[60:61]                   // 0000000040E0: D100001F 00F2031F
	v_mov_b32_e32 v5, 0x7fbfffff                               // 0000000040E8: 7E0A02FF 7FBFFFFF
	v_bfe_u32 v2, v32, 22, 1                                   // 0000000040F0: D1C80002 02052D20
	v_and_b32_e32 v3, v32, v5                                  // 0000000040F8: 26060B20
	v_cmp_eq_u32_e64 s[60:61], v3, 0                           // 0000000040FC: D0CA003C 00010103
	v_cndmask_b32_e64 v4, 1, 0, s[60:61]                       // 000000004104: D1000004 00F10081
	v_and_b32_e32 v4, v4, v2                                   // 00000000410C: 26080504
	v_bfe_u32 v5, v32, 23, 8                                   // 000000004110: D1C80005 02212F20
	v_add_u32_e32 v5, v5, v4                                   // 000000004118: 680A0905
	v_cmp_u_f32_e64 s[60:61], v32, v32                         // 00000000411C: D048003C 00024120
	v_lshlrev_b32_e32 v32, 23, v5                              // 000000004124: 24400A97
	v_cndmask_b32_e64 v32, v32, v1, s[60:61]                   // 000000004128: D1000020 00F20320
	s_mov_b32 s60, 0xffff                                      // 000000004130: BEBC00FF 0000FFFF
	v_cvt_scalef32_pk_fp4_f32 v44, v44, v45, v31               // 000000004138: D23D002C 047E5B2C
	v_cvt_scalef32_pk_fp4_f32 v44, v46, v47, v31 op_sel:[0,0,1,0]// 000000004140: D23D202C 047E5F2E
	v_cvt_scalef32_pk_fp4_f32 v48, v48, v49, v31               // 000000004148: D23D0030 047E6330
	v_cvt_scalef32_pk_fp4_f32 v48, v50, v51, v31 op_sel:[0,0,1,0]// 000000004150: D23D2030 047E6732
	s_nop 1                                                    // 000000004158: BF800001
	v_permlane16_swap_b32_e32 v44, v48                         // 00000000415C: 7E58B330
	s_nop 1                                                    // 000000004160: BF800001
	v_and_b32_e64 v44, v44, s60                                // 000000004164: D113002C 0000792C
	v_lshlrev_b32_e32 v48, 16, v48                             // 00000000416C: 24606090
	v_or_b32_e32 v44, v44, v48                                 // 000000004170: 2858612C
	v_mov_b32_e32 v48, v44                                     // 000000004174: 7E60032C
	s_nop 1                                                    // 000000004178: BF800001
	v_permlane32_swap_b32_e32 v44, v48                         // 00000000417C: 7E58B530
	s_nop 1                                                    // 000000004180: BF800001
	v_permlane16_swap_b32_e32 v44, v48                         // 000000004184: 7E58B330
	s_nop 1                                                    // 000000004188: BF800001
	v_permlane32_swap_b32_e32 v44, v48                         // 00000000418C: 7E58B530
	s_nop 1                                                    // 000000004190: BF800001
	v_cvt_scalef32_pk_fp4_f32 v60, v60, v61, v32               // 000000004194: D23D003C 04827B3C
	v_cvt_scalef32_pk_fp4_f32 v60, v62, v63, v32 op_sel:[0,0,1,0]// 00000000419C: D23D203C 04827F3E
	v_cvt_scalef32_pk_fp4_f32 v64, v64, v65, v32               // 0000000041A4: D23D0040 04828340
	v_cvt_scalef32_pk_fp4_f32 v64, v66, v67, v32 op_sel:[0,0,1,0]// 0000000041AC: D23D2040 04828742
	s_nop 1                                                    // 0000000041B4: BF800001
	v_permlane16_swap_b32_e32 v60, v64                         // 0000000041B8: 7E78B340
	s_nop 1                                                    // 0000000041BC: BF800001
	v_and_b32_e64 v60, v60, s60                                // 0000000041C0: D113003C 0000793C
	v_lshlrev_b32_e32 v64, 16, v64                             // 0000000041C8: 24808090
	v_or_b32_e32 v60, v60, v64                                 // 0000000041CC: 2878813C
	v_mov_b32_e32 v64, v60                                     // 0000000041D0: 7E80033C
	s_nop 1                                                    // 0000000041D4: BF800001
	v_permlane32_swap_b32_e32 v60, v64                         // 0000000041D8: 7E78B540
	s_nop 1                                                    // 0000000041DC: BF800001
	v_permlane16_swap_b32_e32 v60, v64                         // 0000000041E0: 7E78B340
	s_nop 1                                                    // 0000000041E4: BF800001
	v_permlane32_swap_b32_e32 v60, v64                         // 0000000041E8: 7E78B540
	s_nop 1                                                    // 0000000041EC: BF800001
	v_mov_b32_e32 v33, 0x358637bd                              // 0000000041F0: 7E4202FF 358637BD
	v_mov_b32_e32 v34, 0x358637bd                              // 0000000041F8: 7E4402FF 358637BD
	v_max3_f32 v33, |v52|, |v53|, v33                          // 000000004200: D1D30321 04866B34
	v_max3_f32 v33, |v54|, |v55|, v33                          // 000000004208: D1D30321 04866F36
	v_max3_f32 v33, |v56|, |v57|, v33                          // 000000004210: D1D30321 04867338
	v_max3_f32 v33, |v58|, |v59|, v33                          // 000000004218: D1D30321 0486773A
	v_max3_f32 v34, |v68|, |v69|, v34                          // 000000004220: D1D30322 048A8B44
	v_max3_f32 v34, |v70|, |v71|, v34                          // 000000004228: D1D30322 048A8F46
	v_max3_f32 v34, |v72|, |v73|, v34                          // 000000004230: D1D30322 048A9348
	v_max3_f32 v34, |v74|, |v75|, v34                          // 000000004238: D1D30322 048A974A
	v_mov_b32_e32 v2, v33                                      // 000000004240: 7E040321
	s_nop 1                                                    // 000000004244: BF800001
	v_permlane32_swap_b32_e32 v2, v33                          // 000000004248: 7E04B521
	v_max_f32_e32 v33, v2, v33                                 // 00000000424C: 16424302
	v_mov_b32_e32 v2, v33                                      // 000000004250: 7E040321
	s_nop 1                                                    // 000000004254: BF800001
	v_permlane16_swap_b32_e32 v2, v33                          // 000000004258: 7E04B321
	v_max_f32_e32 v33, v2, v33                                 // 00000000425C: 16424302
	v_mov_b32_e32 v2, v34                                      // 000000004260: 7E040322
	s_nop 1                                                    // 000000004264: BF800001
	v_permlane32_swap_b32_e32 v2, v34                          // 000000004268: 7E04B522
	v_max_f32_e32 v34, v2, v34                                 // 00000000426C: 16444502
	v_mov_b32_e32 v2, v34                                      // 000000004270: 7E040322
	s_nop 1                                                    // 000000004274: BF800001
	v_permlane16_swap_b32_e32 v2, v34                          // 000000004278: 7E04B322
	v_max_f32_e32 v34, v2, v34                                 // 00000000427C: 16444502
	v_mov_b32_e32 v2, 0x3e800000                               // 000000004280: 7E0402FF 3E800000
	v_mul_f32_e32 v33, v2, v33                                 // 000000004288: 0A424302
	v_mul_f32_e32 v34, v2, v34                                 // 00000000428C: 0A444502
	v_mov_b32_e32 v1, 0x7fff0000                               // 000000004290: 7E0202FF 7FFF0000
	v_mov_b32_e32 v5, 0x7fbfffff                               // 000000004298: 7E0A02FF 7FBFFFFF
	v_bfe_u32 v2, v33, 22, 1                                   // 0000000042A0: D1C80002 02052D21
	v_and_b32_e32 v3, v33, v5                                  // 0000000042A8: 26060B21
	v_cmp_eq_u32_e64 s[60:61], v3, 0                           // 0000000042AC: D0CA003C 00010103
	v_cndmask_b32_e64 v4, 1, 0, s[60:61]                       // 0000000042B4: D1000004 00F10081
	v_and_b32_e32 v4, v4, v2                                   // 0000000042BC: 26080504
	v_bfe_u32 v5, v33, 23, 8                                   // 0000000042C0: D1C80005 02212F21
	v_add_u32_e32 v5, v5, v4                                   // 0000000042C8: 680A0905
	v_cmp_u_f32_e64 s[60:61], v33, v33                         // 0000000042CC: D048003C 00024321
	v_lshlrev_b32_e32 v33, 23, v5                              // 0000000042D4: 24420A97
	v_cndmask_b32_e64 v33, v33, v1, s[60:61]                   // 0000000042D8: D1000021 00F20321
	v_mov_b32_e32 v5, 0x7fbfffff                               // 0000000042E0: 7E0A02FF 7FBFFFFF
	v_bfe_u32 v2, v34, 22, 1                                   // 0000000042E8: D1C80002 02052D22
	v_and_b32_e32 v3, v34, v5                                  // 0000000042F0: 26060B22
	v_cmp_eq_u32_e64 s[60:61], v3, 0                           // 0000000042F4: D0CA003C 00010103
	v_cndmask_b32_e64 v4, 1, 0, s[60:61]                       // 0000000042FC: D1000004 00F10081
	v_and_b32_e32 v4, v4, v2                                   // 000000004304: 26080504
	v_bfe_u32 v5, v34, 23, 8                                   // 000000004308: D1C80005 02212F22
	v_add_u32_e32 v5, v5, v4                                   // 000000004310: 680A0905
	v_cmp_u_f32_e64 s[60:61], v34, v34                         // 000000004314: D048003C 00024522
	v_lshlrev_b32_e32 v34, 23, v5                              // 00000000431C: 24440A97
	v_cndmask_b32_e64 v34, v34, v1, s[60:61]                   // 000000004320: D1000022 00F20322
	s_mov_b32 s60, 0xffff                                      // 000000004328: BEBC00FF 0000FFFF
	v_cvt_scalef32_pk_fp4_f32 v52, v52, v53, v33               // 000000004330: D23D0034 04866B34
	v_cvt_scalef32_pk_fp4_f32 v52, v54, v55, v33 op_sel:[0,0,1,0]// 000000004338: D23D2034 04866F36
	v_cvt_scalef32_pk_fp4_f32 v56, v56, v57, v33               // 000000004340: D23D0038 04867338
	v_cvt_scalef32_pk_fp4_f32 v56, v58, v59, v33 op_sel:[0,0,1,0]// 000000004348: D23D2038 0486773A
	s_nop 1                                                    // 000000004350: BF800001
	v_permlane16_swap_b32_e32 v52, v56                         // 000000004354: 7E68B338
	s_nop 1                                                    // 000000004358: BF800001
	v_and_b32_e64 v52, v52, s60                                // 00000000435C: D1130034 00007934
	v_lshlrev_b32_e32 v56, 16, v56                             // 000000004364: 24707090
	v_or_b32_e32 v52, v52, v56                                 // 000000004368: 28687134
	v_mov_b32_e32 v56, v52                                     // 00000000436C: 7E700334
	s_nop 1                                                    // 000000004370: BF800001
	v_permlane32_swap_b32_e32 v52, v56                         // 000000004374: 7E68B538
	s_nop 1                                                    // 000000004378: BF800001
	v_permlane16_swap_b32_e32 v52, v56                         // 00000000437C: 7E68B338
	s_nop 1                                                    // 000000004380: BF800001
	v_permlane32_swap_b32_e32 v52, v56                         // 000000004384: 7E68B538
	s_nop 1                                                    // 000000004388: BF800001
	v_cvt_scalef32_pk_fp4_f32 v68, v68, v69, v34               // 00000000438C: D23D0044 048A8B44
	v_cvt_scalef32_pk_fp4_f32 v68, v70, v71, v34 op_sel:[0,0,1,0]// 000000004394: D23D2044 048A8F46
	v_cvt_scalef32_pk_fp4_f32 v72, v72, v73, v34               // 00000000439C: D23D0048 048A9348
	v_cvt_scalef32_pk_fp4_f32 v72, v74, v75, v34 op_sel:[0,0,1,0]// 0000000043A4: D23D2048 048A974A
	s_nop 1                                                    // 0000000043AC: BF800001
	v_permlane16_swap_b32_e32 v68, v72                         // 0000000043B0: 7E88B348
	s_nop 1                                                    // 0000000043B4: BF800001
	v_and_b32_e64 v68, v68, s60                                // 0000000043B8: D1130044 00007944
	v_lshlrev_b32_e32 v72, 16, v72                             // 0000000043C0: 24909090
	v_or_b32_e32 v68, v68, v72                                 // 0000000043C4: 28889144
	v_mov_b32_e32 v72, v68                                     // 0000000043C8: 7E900344
	s_nop 1                                                    // 0000000043CC: BF800001
	v_permlane32_swap_b32_e32 v68, v72                         // 0000000043D0: 7E88B548
	s_nop 1                                                    // 0000000043D4: BF800001
	v_permlane16_swap_b32_e32 v68, v72                         // 0000000043D8: 7E88B348
	s_nop 1                                                    // 0000000043DC: BF800001
	v_permlane32_swap_b32_e32 v68, v72                         // 0000000043E0: 7E88B548
	s_nop 1                                                    // 0000000043E4: BF800001
	v_lshrrev_b32_e32 v2, 5, v0                                // 0000000043E8: 20040085
	v_lshlrev_b32_e32 v3, 6, v2                                // 0000000043EC: 24060486
	v_and_b32_e32 v2, 31, v0                                   // 0000000043F0: 2604009F
	v_lshrrev_b32_e32 v4, 4, v2                                // 0000000043F4: 20080484
	v_add_u32_e32 v3, v4, v3                                   // 0000000043F8: 68060704
	v_and_b32_e32 v2, 15, v0                                   // 0000000043FC: 2604008F
	v_lshlrev_b32_e32 v2, 1, v2                                // 000000004400: 24040481
	v_add_u32_e32 v3, v2, v3                                   // 000000004404: 68060702
	v_lshlrev_b32_e32 v2, 2, v3                                // 000000004408: 24040682
	s_mov_b32 s60, 0                                           // 00000000440C: BEBC0080
	s_lshr_b32 s61, s7, 1                                      // 000000004410: 8F3D8107
	s_mul_i32 s61, s61, 0x200                                  // 000000004414: 923DFF3D 00000200
	s_add_u32 s60, s61, s60                                    // 00000000441C: 803C3C3D
	s_and_b32 s61, s7, 1                                       // 000000004420: 863D8107
	s_mul_i32 s61, s61, 0x80                                   // 000000004424: 923DFF3D 00000080
	s_add_u32 s60, s61, s60                                    // 00000000442C: 803C3C3D
	v_add_u32_e64 v2, v2, s60                                  // 000000004430: D1340002 00007902
	ds_write_b32 v2, v44                                       // 000000004438: D81A0000 00002C02
	ds_write_b32 v2, v52 offset:1024                           // 000000004440: D81A0400 00003402
	ds_write_b32 v2, v60 offset:2048                           // 000000004448: D81A0800 00003C02
	ds_write_b32 v2, v68 offset:3072                           // 000000004450: D81A0C00 00004402
	s_waitcnt lgkmcnt(0)                                       // 000000004458: BF8CC07F
	s_barrier                                                  // 00000000445C: BF8A0000
	v_and_b32_e32 v2, 31, v0                                   // 000000004460: 2604009F
	v_lshrrev_b32_e32 v2, 4, v2                                // 000000004464: 20040484
	v_lshlrev_b32_e32 v3, 5, v2                                // 000000004468: 24060485
	v_lshrrev_b32_e32 v2, 5, v0                                // 00000000446C: 20040085
	v_lshlrev_b32_e32 v2, 7, v2                                // 000000004470: 24040487
	v_add_u32_e32 v3, v2, v3                                   // 000000004474: 68060702
	v_and_b32_e32 v2, 15, v0                                   // 000000004478: 2604008F
	v_lshlrev_b32_e32 v2, 1, v2                                // 00000000447C: 24040481
	v_add_u32_e32 v3, v2, v3                                   // 000000004480: 68060702
	v_lshlrev_b32_e32 v2, 2, v3                                // 000000004484: 24040682
	ds_read_b64 v[44:45], v2                                   // 000000004488: D8EC0000 2C000002
	ds_read_b64 v[46:47], v2 offset:256                        // 000000004490: D8EC0100 2E000002
	ds_read_b64 v[48:49], v2 offset:1024                       // 000000004498: D8EC0400 30000002
	ds_read_b64 v[50:51], v2 offset:1280                       // 0000000044A0: D8EC0500 32000002
	ds_read_b64 v[52:53], v2 offset:2048                       // 0000000044A8: D8EC0800 34000002
	ds_read_b64 v[54:55], v2 offset:2304                       // 0000000044B0: D8EC0900 36000002
	ds_read_b64 v[56:57], v2 offset:3072                       // 0000000044B8: D8EC0C00 38000002
	ds_read_b64 v[58:59], v2 offset:3328                       // 0000000044C0: D8EC0D00 3A000002
	s_waitcnt lgkmcnt(0)                                       // 0000000044C8: BF8CC07F
	s_barrier                                                  // 0000000044CC: BF8A0000
	v_lshrrev_b32_e32 v2, 5, v0                                // 0000000044D0: 20040085
	v_lshlrev_b32_e32 v3, 6, v2                                // 0000000044D4: 24060486
	v_and_b32_e32 v2, 31, v0                                   // 0000000044D8: 2604009F
	v_lshrrev_b32_e32 v4, 4, v2                                // 0000000044DC: 20080484
	v_add_u32_e32 v3, v4, v3                                   // 0000000044E0: 68060704
	v_and_b32_e32 v2, 15, v0                                   // 0000000044E4: 2604008F
	v_lshlrev_b32_e32 v2, 1, v2                                // 0000000044E8: 24040481
	v_add_u32_e32 v3, v2, v3                                   // 0000000044EC: 68060702
	v_lshlrev_b32_e32 v2, 2, v3                                // 0000000044F0: 24040682
	s_mov_b32 s60, 0                                           // 0000000044F4: BEBC0080
	s_lshr_b32 s61, s7, 1                                      // 0000000044F8: 8F3D8107
	s_mul_i32 s61, s61, 0x200                                  // 0000000044FC: 923DFF3D 00000200
	s_add_u32 s60, s61, s60                                    // 000000004504: 803C3C3D
	s_and_b32 s61, s7, 1                                       // 000000004508: 863D8107
	s_mul_i32 s61, s61, 0x80                                   // 00000000450C: 923DFF3D 00000080
	s_add_u32 s60, s61, s60                                    // 000000004514: 803C3C3D
	v_add_u32_e64 v2, v2, s60                                  // 000000004518: D1340002 00007902
	ds_write_b32 v2, v31                                       // 000000004520: D81A0000 00001F02
	ds_write_b32 v2, v33 offset:1024                           // 000000004528: D81A0400 00002102
	ds_write_b32 v2, v32 offset:2048                           // 000000004530: D81A0800 00002002
	ds_write_b32 v2, v34 offset:3072                           // 000000004538: D81A0C00 00002202
	s_waitcnt lgkmcnt(0)                                       // 000000004540: BF8CC07F
	s_barrier                                                  // 000000004544: BF8A0000
	v_and_b32_e32 v2, 31, v0                                   // 000000004548: 2604009F
	v_lshrrev_b32_e32 v2, 4, v2                                // 00000000454C: 20040484
	v_lshlrev_b32_e32 v3, 5, v2                                // 000000004550: 24060485
	v_lshrrev_b32_e32 v2, 5, v0                                // 000000004554: 20040085
	v_lshlrev_b32_e32 v2, 7, v2                                // 000000004558: 24040487
	v_add_u32_e32 v3, v2, v3                                   // 00000000455C: 68060702
	v_and_b32_e32 v2, 15, v0                                   // 000000004560: 2604008F
	v_lshlrev_b32_e32 v2, 1, v2                                // 000000004564: 24040481
	v_add_u32_e32 v3, v2, v3                                   // 000000004568: 68060702
	v_lshlrev_b32_e32 v2, 2, v3                                // 00000000456C: 24040682
	ds_read_b32 v31, v2                                        // 000000004570: D86C0000 1F000002
	ds_read_b32 v33, v2 offset:1024                            // 000000004578: D86C0400 21000002
	ds_read_b32 v32, v2 offset:2048                            // 000000004580: D86C0800 20000002
	ds_read_b32 v34, v2 offset:3072                            // 000000004588: D86C0C00 22000002
	s_waitcnt lgkmcnt(0)                                       // 000000004590: BF8CC07F
	s_barrier                                                  // 000000004594: BF8A0000
	v_bfe_u32 v31, v31, 23, 8                                  // 000000004598: D1C8001F 02212F1F
	v_bfe_u32 v32, v32, 23, 8                                  // 0000000045A0: D1C80020 02212F20
	v_bfe_u32 v33, v33, 23, 8                                  // 0000000045A8: D1C80021 02212F21
	v_bfe_u32 v34, v34, 23, 8                                  // 0000000045B0: D1C80022 02212F22
	v_mov_b32_e32 v2, 0                                        // 0000000045B8: 7E040280
	v_lshlrev_b32_e32 v31, 0, v31                              // 0000000045BC: 243E3E80
	v_or_b32_e32 v2, v2, v31                                   // 0000000045C0: 28043F02
	v_lshlrev_b32_e32 v32, 8, v32                              // 0000000045C4: 24404088
	v_or_b32_e32 v2, v2, v32                                   // 0000000045C8: 28044102
	v_lshlrev_b32_e32 v33, 16, v33                             // 0000000045CC: 24424290
	v_or_b32_e32 v2, v2, v33                                   // 0000000045D0: 28044302
	v_lshlrev_b32_e32 v34, 24, v34                             // 0000000045D4: 24444498
	v_or_b32_e32 v2, v2, v34                                   // 0000000045D8: 28044502
	v_mov_b32_e32 v31, v2                                      // 0000000045DC: 7E3E0302
	s_add_u32 s12, s56, s12                                    // 0000000045E0: 800C0C38
	s_addc_u32 s13, 0, s13                                     // 0000000045E4: 820D0D80
	s_add_u32 s16, s79, s16                                    // 0000000045E8: 8010104F
	s_addc_u32 s17, 0, s17                                     // 0000000045EC: 82111180
	s_waitcnt lgkmcnt(0)                                       // 0000000045F0: BF8CC07F
	s_barrier                                                  // 0000000045F4: BF8A0000
	v_mov_b32_e32 v108, 0                                      // 0000000045F8: 7ED80280
	v_mov_b32_e32 v140, 0                                      // 0000000045FC: 7F180280
	v_mov_b32_e32 v109, 0                                      // 000000004600: 7EDA0280
	v_mov_b32_e32 v141, 0                                      // 000000004604: 7F1A0280
	v_mov_b32_e32 v110, 0                                      // 000000004608: 7EDC0280
	v_mov_b32_e32 v142, 0                                      // 00000000460C: 7F1C0280
	v_mov_b32_e32 v111, 0                                      // 000000004610: 7EDE0280
	v_mov_b32_e32 v143, 0                                      // 000000004614: 7F1E0280
	v_mov_b32_e32 v112, 0                                      // 000000004618: 7EE00280
	v_mov_b32_e32 v144, 0                                      // 00000000461C: 7F200280
	v_mov_b32_e32 v113, 0                                      // 000000004620: 7EE20280
	v_mov_b32_e32 v145, 0                                      // 000000004624: 7F220280
	v_mov_b32_e32 v114, 0                                      // 000000004628: 7EE40280
	v_mov_b32_e32 v146, 0                                      // 00000000462C: 7F240280
	v_mov_b32_e32 v115, 0                                      // 000000004630: 7EE60280
	v_mov_b32_e32 v147, 0                                      // 000000004634: 7F260280
	v_mov_b32_e32 v116, 0                                      // 000000004638: 7EE80280
	v_mov_b32_e32 v148, 0                                      // 00000000463C: 7F280280
	v_mov_b32_e32 v117, 0                                      // 000000004640: 7EEA0280
	v_mov_b32_e32 v149, 0                                      // 000000004644: 7F2A0280
	v_mov_b32_e32 v118, 0                                      // 000000004648: 7EEC0280
	v_mov_b32_e32 v150, 0                                      // 00000000464C: 7F2C0280
	v_mov_b32_e32 v119, 0                                      // 000000004650: 7EEE0280
	v_mov_b32_e32 v151, 0                                      // 000000004654: 7F2E0280
	v_mov_b32_e32 v120, 0                                      // 000000004658: 7EF00280
	v_mov_b32_e32 v152, 0                                      // 00000000465C: 7F300280
	v_mov_b32_e32 v121, 0                                      // 000000004660: 7EF20280
	v_mov_b32_e32 v153, 0                                      // 000000004664: 7F320280
	v_mov_b32_e32 v122, 0                                      // 000000004668: 7EF40280
	v_mov_b32_e32 v154, 0                                      // 00000000466C: 7F340280
	v_mov_b32_e32 v123, 0                                      // 000000004670: 7EF60280
	v_mov_b32_e32 v155, 0                                      // 000000004674: 7F360280
	ds_write_b64 v8, v[108:109]                                // 000000004678: D89A0000 00006C08
	ds_write_b64 v8, v[110:111] offset:8704                    // 000000004680: D89A2200 00006E08
	ds_write_b64 v8, v[112:113] offset:544                     // 000000004688: D89A0220 00007008
	ds_write_b64 v8, v[114:115] offset:9248                    // 000000004690: D89A2420 00007208
	ds_write_b64 v8, v[116:117] offset:4352                    // 000000004698: D89A1100 00007408
	ds_write_b64 v8, v[118:119] offset:13056                   // 0000000046A0: D89A3300 00007608
	ds_write_b64 v8, v[120:121] offset:4896                    // 0000000046A8: D89A1320 00007808
	ds_write_b64 v8, v[122:123] offset:13600                   // 0000000046B0: D89A3520 00007A08
	s_mov_b32 s80, 0                                           // 0000000046B8: BED00080
	s_waitcnt vmcnt(0) expcnt(0) lgkmcnt(0)                    // 0000000046BC: BF8C0000

00000000000046c0 <label_06F0>:
	s_waitcnt vmcnt(6) lgkmcnt(0)                              // 0000000046C0: BF8C0076
	s_barrier                                                  // 0000000046C4: BF8A0000
	v_mfma_scale_f32_16x16x128_f8f6f4 v[108:111], a[0:3], v[44:47], 0, v21, v31 op_sel_hi:[0,0,0] cbsz:4 blgp:4// 0000000046C8: D3AC6000 00023F15 D3AD0C6C 8A025900
	ds_read_b32 v76, v9                                        // 0000000046D8: D86C0000 4C000009
	ds_read_b32 v77, v9 offset:4352                            // 0000000046E0: D86C1100 4D000009
	ds_read_b32 v78, v9 offset:8                               // 0000000046E8: D86C0008 4E000009
	ds_read_b32 v79, v9 offset:4360                            // 0000000046F0: D86C1108 4F000009
	v_mfma_scale_f32_16x16x128_f8f6f4 v[112:115], a[0:3], v[52:55], 0, v21, v31 op_sel_hi:[0,0,0] cbsz:4 blgp:4// 0000000046F8: D3AC7000 00023F15 D3AD0C70 8A026900
	buffer_load_dwordx4 a[32:35], v40, s[12:15], 0 offen       // 000000004708: E05C1000 80832028
	v_mfma_scale_f32_16x16x128_f8f6f4 v[116:119], a[4:7], v[44:47], 0, v21, v31 op_sel_hi:[0,0,0] cbsz:4 blgp:4// 000000004710: D3AC6800 00023F15 D3AD0C74 8A025904
	ds_read_b32 v80, v9 offset:32                              // 000000004720: D86C0020 50000009
	ds_read_b32 v81, v9 offset:4384                            // 000000004728: D86C1120 51000009
	ds_read_b32 v82, v9 offset:40                              // 000000004730: D86C0028 52000009
	ds_read_b32 v83, v9 offset:4392                            // 000000004738: D86C1128 53000009
	v_mfma_scale_f32_16x16x128_f8f6f4 v[120:123], a[4:7], v[52:55], 0, v21, v31 op_sel_hi:[0,0,0] cbsz:4 blgp:4// 000000004740: D3AC7800 00023F15 D3AD0C78 8A026904
	buffer_load_dwordx4 a[36:39], v41, s[12:15], 0 offen       // 000000004750: E05C1000 80832429
	buffer_load_dword v23, v10, s[16:19], 0 offen              // 000000004758: E0501000 8004170A
	buffer_load_dword v24, v11, s[16:19], 0 offen              // 000000004760: E0501000 8004180B
	s_waitcnt vmcnt(8)                                         // 000000004768: BF8C0F78
	v_mfma_scale_f32_16x16x128_f8f6f4 v[124:127], a[8:11], v[44:47], 0, v22, v31 op_sel_hi:[0,0,0] cbsz:4 blgp:4// 00000000476C: D3AC6000 00023F16 D3AD0C7C 8A025908
	ds_read_b32 v84, v9 offset:8704                            // 00000000477C: D86C2200 54000009
	ds_read_b32 v85, v9 offset:13056                           // 000000004784: D86C3300 55000009
	ds_read_b32 v86, v9 offset:8712                            // 00000000478C: D86C2208 56000009
	ds_read_b32 v87, v9 offset:13064                           // 000000004794: D86C3308 57000009
	v_mfma_scale_f32_16x16x128_f8f6f4 v[128:131], a[8:11], v[52:55], 0, v22, v31 op_sel_hi:[0,0,0] cbsz:4 blgp:4// 00000000479C: D3AC7000 00023F16 D3AD0C80 8A026908
	buffer_load_dwordx4 a[40:43], v42, s[12:15], 0 offen       // 0000000047AC: E05C1000 8083282A
	v_mfma_scale_f32_16x16x128_f8f6f4 v[132:135], a[12:15], v[44:47], 0, v22, v31 op_sel_hi:[0,0,0] cbsz:4 blgp:4// 0000000047B4: D3AC6800 00023F16 D3AD0C84 8A02590C
	ds_read_b32 v88, v9 offset:8736                            // 0000000047C4: D86C2220 58000009
	ds_read_b32 v89, v9 offset:13088                           // 0000000047CC: D86C3320 59000009
	ds_read_b32 v90, v9 offset:8744                            // 0000000047D4: D86C2228 5A000009
	ds_read_b32 v91, v9 offset:13096                           // 0000000047DC: D86C3328 5B000009
	v_mfma_scale_f32_16x16x128_f8f6f4 v[136:139], a[12:15], v[52:55], 0, v22, v31 op_sel_hi:[0,0,0] cbsz:4 blgp:4// 0000000047E4: D3AC7800 00023F16 D3AD0C88 8A02690C
	buffer_load_dwordx4 a[44:47], v43, s[12:15], 0 offen       // 0000000047F4: E05C1000 80832C2B
	s_waitcnt vmcnt(8)                                         // 0000000047FC: BF8C0F78
	v_mfma_scale_f32_16x16x128_f8f6f4 v[108:111], a[16:19], v[48:51], v[108:111], v21, v31 op_sel_hi:[0,0,0] cbsz:4 blgp:4// 000000004800: D3AC6000 18023F15 D3AD0C6C 8DB26110
	ds_write_b64 v8, v[140:141] offset:17408                   // 000000004810: D89A4400 00008C08
	ds_write_b64 v8, v[142:143] offset:26112                   // 000000004818: D89A6600 00008E08
	v_mfma_scale_f32_16x16x128_f8f6f4 v[112:115], a[16:19], v[56:59], v[112:115], v21, v31 op_sel_hi:[0,0,0] cbsz:4 blgp:4// 000000004820: D3AC7000 18023F15 D3AD0C70 8DC27110
	buffer_load_dwordx4 a[48:51], v40, s[12:15], 0 offen offset:1024// 000000004830: E05C1400 80833028
	v_mfma_scale_f32_16x16x128_f8f6f4 v[116:119], a[20:23], v[48:51], v[116:119], v21, v31 op_sel_hi:[0,0,0] cbsz:4 blgp:4// 000000004838: D3AC6800 18023F15 D3AD0C74 8DD26114
	ds_write_b64 v8, v[144:145] offset:17952                   // 000000004848: D89A4620 00009008
	ds_write_b64 v8, v[146:147] offset:26656                   // 000000004850: D89A6820 00009208
	v_mfma_scale_f32_16x16x128_f8f6f4 v[120:123], a[20:23], v[56:59], v[120:123], v21, v31 op_sel_hi:[0,0,0] cbsz:4 blgp:4// 000000004858: D3AC7800 18023F15 D3AD0C78 8DE27114
	buffer_load_dwordx4 a[52:55], v41, s[12:15], 0 offen offset:1024// 000000004868: E05C1400 80833429
	s_waitcnt vmcnt(8)                                         // 000000004870: BF8C0F78
	v_mfma_scale_f32_16x16x128_f8f6f4 v[124:127], a[24:27], v[48:51], v[124:127], v22, v31 op_sel_hi:[0,0,0] cbsz:4 blgp:4// 000000004874: D3AC6000 18023F16 D3AD0C7C 8DF26118
	ds_write_b64 v8, v[148:149] offset:21760                   // 000000004884: D89A5500 00009408
	ds_write_b64 v8, v[150:151] offset:30464                   // 00000000488C: D89A7700 00009608
	v_mfma_scale_f32_16x16x128_f8f6f4 v[128:131], a[24:27], v[56:59], v[128:131], v22, v31 op_sel_hi:[0,0,0] cbsz:4 blgp:4// 000000004894: D3AC7000 18023F16 D3AD0C80 8E027118
	buffer_load_dwordx4 a[56:59], v42, s[12:15], 0 offen offset:1024// 0000000048A4: E05C1400 8083382A
	v_mfma_scale_f32_16x16x128_f8f6f4 v[132:135], a[28:31], v[48:51], v[132:135], v22, v31 op_sel_hi:[0,0,0] cbsz:4 blgp:4// 0000000048AC: D3AC6800 18023F16 D3AD0C84 8E12611C
	ds_write_b64 v8, v[152:153] offset:22304                   // 0000000048BC: D89A5720 00009808
	ds_write_b64 v8, v[154:155] offset:31008                   // 0000000048C4: D89A7920 00009A08
	v_mfma_scale_f32_16x16x128_f8f6f4 v[136:139], a[28:31], v[56:59], v[136:139], v22, v31 op_sel_hi:[0,0,0] cbsz:4 blgp:4// 0000000048CC: D3AC7800 18023F16 D3AD0C88 8E22711C
	buffer_load_dwordx4 a[60:63], v43, s[12:15], 0 offen offset:1024// 0000000048DC: E05C1400 80833C2B
	s_add_u32 s60, 0x200, s80                                  // 0000000048E4: 803C50FF 00000200
	s_cmp_lt_u32 s60, s81                                      // 0000000048EC: BF0A513C
	s_cselect_b32 s56, s56, 0                                  // 0000000048F0: 85388038
	s_cselect_b32 s78, s78, 0                                  // 0000000048F4: 854E804E
	s_cselect_b32 s79, s79, 0                                  // 0000000048F8: 854F804F
	s_add_u32 s12, s56, s12                                    // 0000000048FC: 800C0C38
	s_addc_u32 s13, 0, s13                                     // 000000004900: 820D0D80
	s_add_u32 s16, s79, s16                                    // 000000004904: 8010104F
	s_addc_u32 s17, 0, s17                                     // 000000004908: 82111180
	v_mov_b32_e32 v2, v29                                      // 00000000490C: 7E04031D
	v_mov_b32_e32 v3, v29                                      // 000000004910: 7E06031D
	v_pk_mul_f32 v[108:109], v[2:3], v[108:109]                // 000000004914: D3B1406C 1802D902
	v_pk_mul_f32 v[110:111], v[2:3], v[110:111]                // 00000000491C: D3B1406E 1802DD02
	v_pk_mul_f32 v[116:117], v[2:3], v[116:117]                // 000000004924: D3B14074 1802E902
	v_pk_mul_f32 v[118:119], v[2:3], v[118:119]                // 00000000492C: D3B14076 1802ED02
	v_pk_mul_f32 v[124:125], v[2:3], v[124:125]                // 000000004934: D3B1407C 1802F902
	v_pk_mul_f32 v[126:127], v[2:3], v[126:127]                // 00000000493C: D3B1407E 1802FD02
	v_pk_mul_f32 v[132:133], v[2:3], v[132:133]                // 000000004944: D3B14084 18030902
	v_pk_mul_f32 v[134:135], v[2:3], v[134:135]                // 00000000494C: D3B14086 18030D02
	v_mov_b32_e32 v2, v30                                      // 000000004954: 7E04031E
	v_mov_b32_e32 v3, v30                                      // 000000004958: 7E06031E
	v_pk_mul_f32 v[112:113], v[2:3], v[112:113]                // 00000000495C: D3B14070 1802E102
	v_pk_mul_f32 v[114:115], v[2:3], v[114:115]                // 000000004964: D3B14072 1802E502
	v_pk_mul_f32 v[120:121], v[2:3], v[120:121]                // 00000000496C: D3B14078 1802F102
	v_pk_mul_f32 v[122:123], v[2:3], v[122:123]                // 000000004974: D3B1407A 1802F502
	v_pk_mul_f32 v[128:129], v[2:3], v[128:129]                // 00000000497C: D3B14080 18030102
	v_pk_mul_f32 v[130:131], v[2:3], v[130:131]                // 000000004984: D3B14082 18030502
	v_pk_mul_f32 v[136:137], v[2:3], v[136:137]                // 00000000498C: D3B14088 18031102
	v_pk_mul_f32 v[138:139], v[2:3], v[138:139]                // 000000004994: D3B1408A 18031502
	v_cvt_pk_bf16_f32 v108, v108, v109                         // 00000000499C: D268006C 0002DB6C
	v_cvt_pk_bf16_f32 v109, v110, v111                         // 0000000049A4: D268006D 0002DF6E
	v_cvt_pk_bf16_f32 v110, v112, v113                         // 0000000049AC: D268006E 0002E370
	v_cvt_pk_bf16_f32 v111, v114, v115                         // 0000000049B4: D268006F 0002E772
	v_cvt_pk_bf16_f32 v112, v116, v117                         // 0000000049BC: D2680070 0002EB74
	v_cvt_pk_bf16_f32 v113, v118, v119                         // 0000000049C4: D2680071 0002EF76
	v_cvt_pk_bf16_f32 v114, v120, v121                         // 0000000049CC: D2680072 0002F378
	v_cvt_pk_bf16_f32 v115, v122, v123                         // 0000000049D4: D2680073 0002F77A
	v_cvt_pk_bf16_f32 v116, v124, v125                         // 0000000049DC: D2680074 0002FB7C
	v_cvt_pk_bf16_f32 v117, v126, v127                         // 0000000049E4: D2680075 0002FF7E
	v_cvt_pk_bf16_f32 v118, v128, v129                         // 0000000049EC: D2680076 00030380
	v_cvt_pk_bf16_f32 v119, v130, v131                         // 0000000049F4: D2680077 00030782
	v_cvt_pk_bf16_f32 v120, v132, v133                         // 0000000049FC: D2680078 00030B84
	v_cvt_pk_bf16_f32 v121, v134, v135                         // 000000004A04: D2680079 00030F86
	v_cvt_pk_bf16_f32 v122, v136, v137                         // 000000004A0C: D268007A 00031388
	v_cvt_pk_bf16_f32 v123, v138, v139                         // 000000004A14: D268007B 0003178A
	s_cmp_ge_u32 s80, 0x200                                    // 000000004A1C: BF09FF50 00000200
	s_cselect_b32 s59, 0x200, s59                              // 000000004A24: 853B3BFF 00000200
	s_setvskip s20, 0                                          // 000000004A2C: BF108014
	global_atomic_pk_add_bf16 v92, v76, s[8:9]                 // 000000004A30: DD488000 00084C5C
	s_setvskip 0, 0                                            // 000000004A38: BF108080
	s_setvskip s20, 0                                          // 000000004A3C: BF108014
	global_atomic_pk_add_bf16 v92, v77, s[8:9] offset:256      // 000000004A40: DD488100 00084D5C
	s_setvskip 0, 0                                            // 000000004A48: BF108080
	s_setvskip s20, 1                                          // 000000004A4C: BF108114
	global_atomic_pk_add_bf16 v94, v78, s[8:9]                 // 000000004A50: DD488000 00084E5E
	s_setvskip 0, 0                                            // 000000004A58: BF108080
	s_setvskip s20, 1                                          // 000000004A5C: BF108114
	global_atomic_pk_add_bf16 v94, v79, s[8:9] offset:256      // 000000004A60: DD488100 00084F5E
	s_setvskip 0, 0                                            // 000000004A68: BF108080
	s_setvskip s20, 2                                          // 000000004A6C: BF108214
	global_atomic_pk_add_bf16 v96, v80, s[8:9]                 // 000000004A70: DD488000 00085060
	s_setvskip 0, 0                                            // 000000004A78: BF108080
	s_setvskip s20, 2                                          // 000000004A7C: BF108214
	global_atomic_pk_add_bf16 v96, v81, s[8:9] offset:256      // 000000004A80: DD488100 00085160
	s_setvskip 0, 0                                            // 000000004A88: BF108080
	s_setvskip s20, 3                                          // 000000004A8C: BF108314
	global_atomic_pk_add_bf16 v98, v82, s[8:9]                 // 000000004A90: DD488000 00085262
	s_setvskip 0, 0                                            // 000000004A98: BF108080
	s_setvskip s20, 3                                          // 000000004A9C: BF108314
	global_atomic_pk_add_bf16 v98, v83, s[8:9] offset:256      // 000000004AA0: DD488100 00085362
	s_setvskip 0, 0                                            // 000000004AA8: BF108080
	s_setvskip s20, 4                                          // 000000004AAC: BF108414
	global_atomic_pk_add_bf16 v100, v84, s[8:9]                // 000000004AB0: DD488000 00085464
	s_setvskip 0, 0                                            // 000000004AB8: BF108080
	s_setvskip s20, 4                                          // 000000004ABC: BF108414
	global_atomic_pk_add_bf16 v100, v85, s[8:9] offset:256     // 000000004AC0: DD488100 00085564
	s_setvskip 0, 0                                            // 000000004AC8: BF108080
	s_setvskip s20, 5                                          // 000000004ACC: BF108514
	global_atomic_pk_add_bf16 v102, v86, s[8:9]                // 000000004AD0: DD488000 00085666
	s_setvskip 0, 0                                            // 000000004AD8: BF108080
	s_setvskip s20, 5                                          // 000000004ADC: BF108514
	global_atomic_pk_add_bf16 v102, v87, s[8:9] offset:256     // 000000004AE0: DD488100 00085766
	s_setvskip 0, 0                                            // 000000004AE8: BF108080
	s_setvskip s20, 6                                          // 000000004AEC: BF108614
	global_atomic_pk_add_bf16 v104, v88, s[8:9]                // 000000004AF0: DD488000 00085868
	s_setvskip 0, 0                                            // 000000004AF8: BF108080
	s_setvskip s20, 6                                          // 000000004AFC: BF108614
	global_atomic_pk_add_bf16 v104, v89, s[8:9] offset:256     // 000000004B00: DD488100 00085968
	s_setvskip 0, 0                                            // 000000004B08: BF108080
	s_setvskip s20, 7                                          // 000000004B0C: BF108714
	global_atomic_pk_add_bf16 v106, v90, s[8:9]                // 000000004B10: DD488000 00085A6A
	s_setvskip 0, 0                                            // 000000004B18: BF108080
	s_setvskip s20, 7                                          // 000000004B1C: BF108714
	global_atomic_pk_add_bf16 v106, v91, s[8:9] offset:256     // 000000004B20: DD488100 00085B6A
	s_setvskip 0, 0                                            // 000000004B28: BF108080
	s_add_u32 s8, s59, s8                                      // 000000004B2C: 8008083B
	s_addc_u32 s9, 0, s9                                       // 000000004B30: 82090980
	s_addk_i32 s80, 0x100                                      // 000000004B34: B7500100
	s_cmp_lt_i32 s80, s81                                      // 000000004B38: BF045150
	s_cbranch_scc0 label_0931                                  // 000000004B3C: BF840121
	s_waitcnt vmcnt(6) lgkmcnt(0)                              // 000000004B40: BF8C0076
	s_barrier                                                  // 000000004B44: BF8A0000
	v_mfma_scale_f32_16x16x128_f8f6f4 v[140:143], a[32:35], v[44:47], 0, v23, v31 op_sel_hi:[0,0,0] cbsz:4 blgp:4// 000000004B48: D3AC6000 00023F17 D3AD0C8C 8A025920
	ds_read_b32 v76, v9 offset:17408                           // 000000004B58: D86C4400 4C000009
	ds_read_b32 v77, v9 offset:21760                           // 000000004B60: D86C5500 4D000009
	ds_read_b32 v78, v9 offset:17416                           // 000000004B68: D86C4408 4E000009
	ds_read_b32 v79, v9 offset:21768                           // 000000004B70: D86C5508 4F000009
	v_mfma_scale_f32_16x16x128_f8f6f4 v[144:147], a[32:35], v[52:55], 0, v23, v31 op_sel_hi:[0,0,0] cbsz:4 blgp:4// 000000004B78: D3AC7000 00023F17 D3AD0C90 8A026920
	buffer_load_dwordx4 a[0:3], v40, s[12:15], 0 offen         // 000000004B88: E05C1000 80830028
	v_mfma_scale_f32_16x16x128_f8f6f4 v[148:151], a[36:39], v[44:47], 0, v23, v31 op_sel_hi:[0,0,0] cbsz:4 blgp:4// 000000004B90: D3AC6800 00023F17 D3AD0C94 8A025924
	ds_read_b32 v80, v9 offset:17440                           // 000000004BA0: D86C4420 50000009
	ds_read_b32 v81, v9 offset:21792                           // 000000004BA8: D86C5520 51000009
	ds_read_b32 v82, v9 offset:17448                           // 000000004BB0: D86C4428 52000009
	ds_read_b32 v83, v9 offset:21800                           // 000000004BB8: D86C5528 53000009
	v_mfma_scale_f32_16x16x128_f8f6f4 v[152:155], a[36:39], v[52:55], 0, v23, v31 op_sel_hi:[0,0,0] cbsz:4 blgp:4// 000000004BC0: D3AC7800 00023F17 D3AD0C98 8A026924
	buffer_load_dwordx4 a[4:7], v41, s[12:15], 0 offen         // 000000004BD0: E05C1000 80830429
	buffer_load_dword v21, v10, s[16:19], 0 offen              // 000000004BD8: E0501000 8004150A
	buffer_load_dword v22, v11, s[16:19], 0 offen              // 000000004BE0: E0501000 8004160B
	s_waitcnt vmcnt(8)                                         // 000000004BE8: BF8C0F78
	v_mfma_scale_f32_16x16x128_f8f6f4 v[156:159], a[40:43], v[44:47], 0, v24, v31 op_sel_hi:[0,0,0] cbsz:4 blgp:4// 000000004BEC: D3AC6000 00023F18 D3AD0C9C 8A025928
	ds_read_b32 v84, v9 offset:26112                           // 000000004BFC: D86C6600 54000009
	ds_read_b32 v85, v9 offset:30464                           // 000000004C04: D86C7700 55000009
	ds_read_b32 v86, v9 offset:26120                           // 000000004C0C: D86C6608 56000009
	ds_read_b32 v87, v9 offset:30472                           // 000000004C14: D86C7708 57000009
	v_mfma_scale_f32_16x16x128_f8f6f4 v[160:163], a[40:43], v[52:55], 0, v24, v31 op_sel_hi:[0,0,0] cbsz:4 blgp:4// 000000004C1C: D3AC7000 00023F18 D3AD0CA0 8A026928
	buffer_load_dwordx4 a[8:11], v42, s[12:15], 0 offen        // 000000004C2C: E05C1000 8083082A
	v_mfma_scale_f32_16x16x128_f8f6f4 v[164:167], a[44:47], v[44:47], 0, v24, v31 op_sel_hi:[0,0,0] cbsz:4 blgp:4// 000000004C34: D3AC6800 00023F18 D3AD0CA4 8A02592C
	ds_read_b32 v88, v9 offset:26144                           // 000000004C44: D86C6620 58000009
	ds_read_b32 v89, v9 offset:30496                           // 000000004C4C: D86C7720 59000009
	ds_read_b32 v90, v9 offset:26152                           // 000000004C54: D86C6628 5A000009
	ds_read_b32 v91, v9 offset:30504                           // 000000004C5C: D86C7728 5B000009
	v_mfma_scale_f32_16x16x128_f8f6f4 v[168:171], a[44:47], v[52:55], 0, v24, v31 op_sel_hi:[0,0,0] cbsz:4 blgp:4// 000000004C64: D3AC7800 00023F18 D3AD0CA8 8A02692C
	buffer_load_dwordx4 a[12:15], v43, s[12:15], 0 offen       // 000000004C74: E05C1000 80830C2B
	s_waitcnt vmcnt(8)                                         // 000000004C7C: BF8C0F78
	v_mfma_scale_f32_16x16x128_f8f6f4 v[140:143], a[48:51], v[48:51], v[140:143], v23, v31 op_sel_hi:[0,0,0] cbsz:4 blgp:4// 000000004C80: D3AC6000 18023F17 D3AD0C8C 8E326130
	ds_write_b64 v8, v[108:109]                                // 000000004C90: D89A0000 00006C08
	ds_write_b64 v8, v[110:111] offset:8704                    // 000000004C98: D89A2200 00006E08
	v_mfma_scale_f32_16x16x128_f8f6f4 v[144:147], a[48:51], v[56:59], v[144:147], v23, v31 op_sel_hi:[0,0,0] cbsz:4 blgp:4// 000000004CA0: D3AC7000 18023F17 D3AD0C90 8E427130
	buffer_load_dwordx4 a[16:19], v40, s[12:15], 0 offen offset:1024// 000000004CB0: E05C1400 80831028
	v_mfma_scale_f32_16x16x128_f8f6f4 v[148:151], a[52:55], v[48:51], v[148:151], v23, v31 op_sel_hi:[0,0,0] cbsz:4 blgp:4// 000000004CB8: D3AC6800 18023F17 D3AD0C94 8E526134
	ds_write_b64 v8, v[112:113] offset:544                     // 000000004CC8: D89A0220 00007008
	ds_write_b64 v8, v[114:115] offset:9248                    // 000000004CD0: D89A2420 00007208
	v_mfma_scale_f32_16x16x128_f8f6f4 v[152:155], a[52:55], v[56:59], v[152:155], v23, v31 op_sel_hi:[0,0,0] cbsz:4 blgp:4// 000000004CD8: D3AC7800 18023F17 D3AD0C98 8E627134
	buffer_load_dwordx4 a[20:23], v41, s[12:15], 0 offen offset:1024// 000000004CE8: E05C1400 80831429
	s_waitcnt vmcnt(8)                                         // 000000004CF0: BF8C0F78
	v_mfma_scale_f32_16x16x128_f8f6f4 v[156:159], a[56:59], v[48:51], v[156:159], v24, v31 op_sel_hi:[0,0,0] cbsz:4 blgp:4// 000000004CF4: D3AC6000 18023F18 D3AD0C9C 8E726138
	ds_write_b64 v8, v[116:117] offset:4352                    // 000000004D04: D89A1100 00007408
	ds_write_b64 v8, v[118:119] offset:13056                   // 000000004D0C: D89A3300 00007608
	v_mfma_scale_f32_16x16x128_f8f6f4 v[160:163], a[56:59], v[56:59], v[160:163], v24, v31 op_sel_hi:[0,0,0] cbsz:4 blgp:4// 000000004D14: D3AC7000 18023F18 D3AD0CA0 8E827138
	buffer_load_dwordx4 a[24:27], v42, s[12:15], 0 offen offset:1024// 000000004D24: E05C1400 8083182A
	v_mfma_scale_f32_16x16x128_f8f6f4 v[164:167], a[60:63], v[48:51], v[164:167], v24, v31 op_sel_hi:[0,0,0] cbsz:4 blgp:4// 000000004D2C: D3AC6800 18023F18 D3AD0CA4 8E92613C
	ds_write_b64 v8, v[120:121] offset:4896                    // 000000004D3C: D89A1320 00007808
	ds_write_b64 v8, v[122:123] offset:13600                   // 000000004D44: D89A3520 00007A08
	v_mfma_scale_f32_16x16x128_f8f6f4 v[168:171], a[60:63], v[56:59], v[168:171], v24, v31 op_sel_hi:[0,0,0] cbsz:4 blgp:4// 000000004D4C: D3AC7800 18023F18 D3AD0CA8 8EA2713C
	buffer_load_dwordx4 a[28:31], v43, s[12:15], 0 offen offset:1024// 000000004D5C: E05C1400 80831C2B
	s_add_u32 s60, 0x200, s80                                  // 000000004D64: 803C50FF 00000200
	s_cmp_lt_u32 s60, s81                                      // 000000004D6C: BF0A513C
	s_cselect_b32 s56, s56, 0                                  // 000000004D70: 85388038
	s_cselect_b32 s78, s78, 0                                  // 000000004D74: 854E804E
	s_cselect_b32 s79, s79, 0                                  // 000000004D78: 854F804F
	s_add_u32 s12, s56, s12                                    // 000000004D7C: 800C0C38
	s_addc_u32 s13, 0, s13                                     // 000000004D80: 820D0D80
	s_add_u32 s16, s79, s16                                    // 000000004D84: 8010104F
	s_addc_u32 s17, 0, s17                                     // 000000004D88: 82111180
	v_mov_b32_e32 v2, v29                                      // 000000004D8C: 7E04031D
	v_mov_b32_e32 v3, v29                                      // 000000004D90: 7E06031D
	v_pk_mul_f32 v[140:141], v[2:3], v[140:141]                // 000000004D94: D3B1408C 18031902
	v_pk_mul_f32 v[142:143], v[2:3], v[142:143]                // 000000004D9C: D3B1408E 18031D02
	v_pk_mul_f32 v[148:149], v[2:3], v[148:149]                // 000000004DA4: D3B14094 18032902
	v_pk_mul_f32 v[150:151], v[2:3], v[150:151]                // 000000004DAC: D3B14096 18032D02
	v_pk_mul_f32 v[156:157], v[2:3], v[156:157]                // 000000004DB4: D3B1409C 18033902
	v_pk_mul_f32 v[158:159], v[2:3], v[158:159]                // 000000004DBC: D3B1409E 18033D02
	v_pk_mul_f32 v[164:165], v[2:3], v[164:165]                // 000000004DC4: D3B140A4 18034902
	v_pk_mul_f32 v[166:167], v[2:3], v[166:167]                // 000000004DCC: D3B140A6 18034D02
	v_mov_b32_e32 v2, v30                                      // 000000004DD4: 7E04031E
	v_mov_b32_e32 v3, v30                                      // 000000004DD8: 7E06031E
	v_pk_mul_f32 v[144:145], v[2:3], v[144:145]                // 000000004DDC: D3B14090 18032102
	v_pk_mul_f32 v[146:147], v[2:3], v[146:147]                // 000000004DE4: D3B14092 18032502
	v_pk_mul_f32 v[152:153], v[2:3], v[152:153]                // 000000004DEC: D3B14098 18033102
	v_pk_mul_f32 v[154:155], v[2:3], v[154:155]                // 000000004DF4: D3B1409A 18033502
	v_pk_mul_f32 v[160:161], v[2:3], v[160:161]                // 000000004DFC: D3B140A0 18034102
	v_pk_mul_f32 v[162:163], v[2:3], v[162:163]                // 000000004E04: D3B140A2 18034502
	v_pk_mul_f32 v[168:169], v[2:3], v[168:169]                // 000000004E0C: D3B140A8 18035102
	v_pk_mul_f32 v[170:171], v[2:3], v[170:171]                // 000000004E14: D3B140AA 18035502
	v_cvt_pk_bf16_f32 v140, v140, v141                         // 000000004E1C: D268008C 00031B8C
	v_cvt_pk_bf16_f32 v141, v142, v143                         // 000000004E24: D268008D 00031F8E
	v_cvt_pk_bf16_f32 v142, v144, v145                         // 000000004E2C: D268008E 00032390
	v_cvt_pk_bf16_f32 v143, v146, v147                         // 000000004E34: D268008F 00032792
	v_cvt_pk_bf16_f32 v144, v148, v149                         // 000000004E3C: D2680090 00032B94
	v_cvt_pk_bf16_f32 v145, v150, v151                         // 000000004E44: D2680091 00032F96
	v_cvt_pk_bf16_f32 v146, v152, v153                         // 000000004E4C: D2680092 00033398
	v_cvt_pk_bf16_f32 v147, v154, v155                         // 000000004E54: D2680093 0003379A
	v_cvt_pk_bf16_f32 v148, v156, v157                         // 000000004E5C: D2680094 00033B9C
	v_cvt_pk_bf16_f32 v149, v158, v159                         // 000000004E64: D2680095 00033F9E
	v_cvt_pk_bf16_f32 v150, v160, v161                         // 000000004E6C: D2680096 000343A0
	v_cvt_pk_bf16_f32 v151, v162, v163                         // 000000004E74: D2680097 000347A2
	v_cvt_pk_bf16_f32 v152, v164, v165                         // 000000004E7C: D2680098 00034BA4
	v_cvt_pk_bf16_f32 v153, v166, v167                         // 000000004E84: D2680099 00034FA6
	v_cvt_pk_bf16_f32 v154, v168, v169                         // 000000004E8C: D268009A 000353A8
	v_cvt_pk_bf16_f32 v155, v170, v171                         // 000000004E94: D268009B 000357AA
	s_cmp_ge_u32 s80, 0x200                                    // 000000004E9C: BF09FF50 00000200
	s_cselect_b32 s59, 0x200, s59                              // 000000004EA4: 853B3BFF 00000200
	s_setvskip s20, 0                                          // 000000004EAC: BF108014
	global_atomic_pk_add_bf16 v92, v76, s[8:9]                 // 000000004EB0: DD488000 00084C5C
	s_setvskip 0, 0                                            // 000000004EB8: BF108080
	s_setvskip s20, 0                                          // 000000004EBC: BF108014
	global_atomic_pk_add_bf16 v92, v77, s[8:9] offset:256      // 000000004EC0: DD488100 00084D5C
	s_setvskip 0, 0                                            // 000000004EC8: BF108080
	s_setvskip s20, 1                                          // 000000004ECC: BF108114
	global_atomic_pk_add_bf16 v94, v78, s[8:9]                 // 000000004ED0: DD488000 00084E5E
	s_setvskip 0, 0                                            // 000000004ED8: BF108080
	s_setvskip s20, 1                                          // 000000004EDC: BF108114
	global_atomic_pk_add_bf16 v94, v79, s[8:9] offset:256      // 000000004EE0: DD488100 00084F5E
	s_setvskip 0, 0                                            // 000000004EE8: BF108080
	s_setvskip s20, 2                                          // 000000004EEC: BF108214
	global_atomic_pk_add_bf16 v96, v80, s[8:9]                 // 000000004EF0: DD488000 00085060
	s_setvskip 0, 0                                            // 000000004EF8: BF108080
	s_setvskip s20, 2                                          // 000000004EFC: BF108214
	global_atomic_pk_add_bf16 v96, v81, s[8:9] offset:256      // 000000004F00: DD488100 00085160
	s_setvskip 0, 0                                            // 000000004F08: BF108080
	s_setvskip s20, 3                                          // 000000004F0C: BF108314
	global_atomic_pk_add_bf16 v98, v82, s[8:9]                 // 000000004F10: DD488000 00085262
	s_setvskip 0, 0                                            // 000000004F18: BF108080
	s_setvskip s20, 3                                          // 000000004F1C: BF108314
	global_atomic_pk_add_bf16 v98, v83, s[8:9] offset:256      // 000000004F20: DD488100 00085362
	s_setvskip 0, 0                                            // 000000004F28: BF108080
	s_setvskip s20, 4                                          // 000000004F2C: BF108414
	global_atomic_pk_add_bf16 v100, v84, s[8:9]                // 000000004F30: DD488000 00085464
	s_setvskip 0, 0                                            // 000000004F38: BF108080
	s_setvskip s20, 4                                          // 000000004F3C: BF108414
	global_atomic_pk_add_bf16 v100, v85, s[8:9] offset:256     // 000000004F40: DD488100 00085564
	s_setvskip 0, 0                                            // 000000004F48: BF108080
	s_setvskip s20, 5                                          // 000000004F4C: BF108514
	global_atomic_pk_add_bf16 v102, v86, s[8:9]                // 000000004F50: DD488000 00085666
	s_setvskip 0, 0                                            // 000000004F58: BF108080
	s_setvskip s20, 5                                          // 000000004F5C: BF108514
	global_atomic_pk_add_bf16 v102, v87, s[8:9] offset:256     // 000000004F60: DD488100 00085766
	s_setvskip 0, 0                                            // 000000004F68: BF108080
	s_setvskip s20, 6                                          // 000000004F6C: BF108614
	global_atomic_pk_add_bf16 v104, v88, s[8:9]                // 000000004F70: DD488000 00085868
	s_setvskip 0, 0                                            // 000000004F78: BF108080
	s_setvskip s20, 6                                          // 000000004F7C: BF108614
	global_atomic_pk_add_bf16 v104, v89, s[8:9] offset:256     // 000000004F80: DD488100 00085968
	s_setvskip 0, 0                                            // 000000004F88: BF108080
	s_setvskip s20, 7                                          // 000000004F8C: BF108714
	global_atomic_pk_add_bf16 v106, v90, s[8:9]                // 000000004F90: DD488000 00085A6A
	s_setvskip 0, 0                                            // 000000004F98: BF108080
	s_setvskip s20, 7                                          // 000000004F9C: BF108714
	global_atomic_pk_add_bf16 v106, v91, s[8:9] offset:256     // 000000004FA0: DD488100 00085B6A
	s_setvskip 0, 0                                            // 000000004FA8: BF108080
	s_add_u32 s8, s59, s8                                      // 000000004FAC: 8008083B
	s_addc_u32 s9, 0, s9                                       // 000000004FB0: 82090980
	s_addk_i32 s80, 0x100                                      // 000000004FB4: B7500100
	s_cmp_lt_i32 s80, s81                                      // 000000004FB8: BF045150
	s_cbranch_scc0 label_0931                                  // 000000004FBC: BF840001
	s_branch label_06F0                                        // 000000004FC0: BF82FDBF

0000000000004fc4 <label_0931>:
	s_nop 0                                                    // 000000004FC4: BF800000
	s_nop 0                                                    // 000000004FC8: BF800000
	s_branch label_1034                                        // 000000004FCC: BF820700

0000000000004fd0 <label_0934>:
	s_waitcnt vmcnt(6) lgkmcnt(0)                              // 000000004FD0: BF8C0076
	s_barrier                                                  // 000000004FD4: BF8A0000
	v_mfma_scale_f32_16x16x128_f8f6f4 v[44:47], a[0:3], v[108:111], v[44:47], v21, v19 op_sel_hi:[0,0,0] cbsz:4 blgp:4// 000000004FD8: D3AC6000 00022715 D3AD0C2C 8CB2D900
	buffer_load_dwordx4 a[32:35], v36, s[92:95], 0 offen       // 000000004FE8: E05C1000 80972024
	buffer_load_dwordx4 v35, s[20:23], 0 offen lds             // 000000004FF0: E05D1000 80050023
	s_add_u32 m0, 0, s50                                       // 000000004FF8: 807C3280
	v_mfma_scale_f32_16x16x128_f8f6f4 v[60:63], a[0:3], v[116:119], v[60:63], v21, v19 op_sel_hi:[0,0,0] cbsz:4 blgp:4// 000000004FFC: D3AC7000 00022715 D3AD0C3C 8CF2E900
	v_mfma_scale_f32_16x16x128_f8f6f4 v[48:51], a[4:7], v[108:111], v[48:51], v21, v19 op_sel_hi:[0,0,0] cbsz:4 blgp:4// 00000000500C: D3AC6800 00022715 D3AD0C30 8CC2D904
	buffer_load_dwordx4 a[36:39], v37, s[92:95], 0 offen       // 00000000501C: E05C1000 80972425
	buffer_load_dword v20, v12, s[28:31], 0 offen              // 000000005024: E0501000 8007140C
	buffer_load_dword v25, v17, s[32:35], 0 offen              // 00000000502C: E0501000 80081911
	buffer_load_dword v26, v18, s[32:35], 0 offen              // 000000005034: E0501000 80081A12
	v_mfma_scale_f32_16x16x128_f8f6f4 v[64:67], a[4:7], v[116:119], v[64:67], v21, v19 op_sel_hi:[0,0,0] cbsz:4 blgp:4// 00000000503C: D3AC7800 00022715 D3AD0C40 8D02E904
	s_waitcnt vmcnt(10)                                        // 00000000504C: BF8C0F7A
	v_mfma_scale_f32_16x16x128_f8f6f4 v[52:55], a[8:11], v[108:111], v[52:55], v22, v19 op_sel_hi:[0,0,0] cbsz:4 blgp:4// 000000005050: D3AC6000 00022716 D3AD0C34 8CD2D908
	buffer_load_dwordx4 a[40:43], v38, s[92:95], 0 offen       // 000000005060: E05C1000 80972826
	v_mfma_scale_f32_16x16x128_f8f6f4 v[68:71], a[8:11], v[116:119], v[68:71], v22, v19 op_sel_hi:[0,0,0] cbsz:4 blgp:4// 000000005068: D3AC7000 00022716 D3AD0C44 8D12E908
	v_mfma_scale_f32_16x16x128_f8f6f4 v[56:59], a[12:15], v[108:111], v[56:59], v22, v19 op_sel_hi:[0,0,0] cbsz:4 blgp:4// 000000005078: D3AC6800 00022716 D3AD0C38 8CE2D90C
	buffer_load_dwordx4 a[44:47], v39, s[92:95], 0 offen       // 000000005088: E05C1000 80972C27
	v_mfma_scale_f32_16x16x128_f8f6f4 v[72:75], a[12:15], v[116:119], v[72:75], v22, v19 op_sel_hi:[0,0,0] cbsz:4 blgp:4// 000000005090: D3AC7800 00022716 D3AD0C48 8D22E90C
	s_nop 0                                                    // 0000000050A0: BF800000
	s_waitcnt vmcnt(10)                                        // 0000000050A4: BF8C0F7A
	v_mfma_scale_f32_16x16x128_f8f6f4 v[44:47], a[16:19], v[112:115], v[44:47], v21, v19 op_sel_hi:[0,0,0] cbsz:4 blgp:4// 0000000050A8: D3AC6000 18022715 D3AD0C2C 8CB2E110
	buffer_load_dwordx4 a[48:51], v36, s[92:95], 0 offen offset:1024// 0000000050B8: E05C1400 80973024
	v_mfma_scale_f32_16x16x128_f8f6f4 v[60:63], a[16:19], v[120:123], v[60:63], v21, v19 op_sel_hi:[0,0,0] cbsz:4 blgp:4// 0000000050C0: D3AC7000 18022715 D3AD0C3C 8CF2F110
	v_mfma_scale_f32_16x16x128_f8f6f4 v[48:51], a[20:23], v[112:115], v[48:51], v21, v19 op_sel_hi:[0,0,0] cbsz:4 blgp:4// 0000000050D0: D3AC6800 18022715 D3AD0C30 8CC2E114
	buffer_load_dwordx4 a[52:55], v37, s[92:95], 0 offen offset:1024// 0000000050E0: E05C1400 80973425
	v_mfma_scale_f32_16x16x128_f8f6f4 v[64:67], a[20:23], v[120:123], v[64:67], v21, v19 op_sel_hi:[0,0,0] cbsz:4 blgp:4// 0000000050E8: D3AC7800 18022715 D3AD0C40 8D02F114
	s_waitcnt vmcnt(10)                                        // 0000000050F8: BF8C0F7A
	v_mfma_scale_f32_16x16x128_f8f6f4 v[52:55], a[24:27], v[112:115], v[52:55], v22, v19 op_sel_hi:[0,0,0] cbsz:4 blgp:4// 0000000050FC: D3AC6000 18022716 D3AD0C34 8CD2E118
	buffer_load_dwordx4 a[56:59], v38, s[92:95], 0 offen offset:1024// 00000000510C: E05C1400 80973826
	v_mfma_scale_f32_16x16x128_f8f6f4 v[68:71], a[24:27], v[120:123], v[68:71], v22, v19 op_sel_hi:[0,0,0] cbsz:4 blgp:4// 000000005114: D3AC7000 18022716 D3AD0C44 8D12F118
	v_mfma_scale_f32_16x16x128_f8f6f4 v[56:59], a[28:31], v[112:115], v[56:59], v22, v19 op_sel_hi:[0,0,0] cbsz:4 blgp:4// 000000005124: D3AC6800 18022716 D3AD0C38 8CE2E11C
	buffer_load_dwordx4 a[60:63], v39, s[92:95], 0 offen offset:1024// 000000005134: E05C1400 80973C27
	v_mfma_scale_f32_16x16x128_f8f6f4 v[72:75], a[28:31], v[120:123], v[72:75], v22, v19 op_sel_hi:[0,0,0] cbsz:4 blgp:4// 00000000513C: D3AC7800 18022716 D3AD0C48 8D22F11C
	s_add_u32 s60, 0x100, s80                                  // 00000000514C: 803C50FF 00000100
	s_cmp_lt_u32 s60, s81                                      // 000000005154: BF0A513C
	s_cselect_b32 s4, s4, 0                                    // 000000005158: 85048004
	s_add_u32 s32, s4, s32                                     // 00000000515C: 80202004
	s_addc_u32 s33, 0, s33                                     // 000000005160: 82212180
	s_waitcnt vmcnt(6)                                         // 000000005164: BF8C0F76
	s_barrier                                                  // 000000005168: BF8A0000
	v_mfma_scale_f32_16x16x128_f8f6f4 v[76:79], a[32:35], v[108:111], v[76:79], v25, v19 op_sel_hi:[0,0,0] cbsz:4 blgp:4// 00000000516C: D3AC6000 00022719 D3AD0C4C 8D32D920
	buffer_load_dwordx4 a[0:3], v36, s[24:27], 0 offen         // 00000000517C: E05C1000 80860024
	buffer_load_dword v23, v15, s[32:35], 0 offen              // 000000005184: E0501000 8008170F
	buffer_load_dword v24, v16, s[32:35], 0 offen              // 00000000518C: E0501000 80081810
	v_mfma_scale_f32_16x16x128_f8f6f4 v[92:95], a[32:35], v[116:119], v[92:95], v25, v19 op_sel_hi:[0,0,0] cbsz:4 blgp:4// 000000005194: D3AC7000 00022719 D3AD0C5C 8D72E920
	v_mfma_scale_f32_16x16x128_f8f6f4 v[80:83], a[36:39], v[108:111], v[80:83], v25, v19 op_sel_hi:[0,0,0] cbsz:4 blgp:4// 0000000051A4: D3AC6800 00022719 D3AD0C50 8D42D924
	buffer_load_dwordx4 a[4:7], v37, s[24:27], 0 offen         // 0000000051B4: E05C1000 80860425
	v_mfma_scale_f32_16x16x128_f8f6f4 v[96:99], a[36:39], v[116:119], v[96:99], v25, v19 op_sel_hi:[0,0,0] cbsz:4 blgp:4// 0000000051BC: D3AC7800 00022719 D3AD0C60 8D82E924
	s_waitcnt vmcnt(8)                                         // 0000000051CC: BF8C0F78
	v_mfma_scale_f32_16x16x128_f8f6f4 v[84:87], a[40:43], v[108:111], v[84:87], v26, v19 op_sel_hi:[0,0,0] cbsz:4 blgp:4// 0000000051D0: D3AC6000 0002271A D3AD0C54 8D52D928
	buffer_load_dwordx4 a[8:11], v38, s[24:27], 0 offen        // 0000000051E0: E05C1000 80860826
	v_mfma_scale_f32_16x16x128_f8f6f4 v[100:103], a[40:43], v[116:119], v[100:103], v26, v19 op_sel_hi:[0,0,0] cbsz:4 blgp:4// 0000000051E8: D3AC7000 0002271A D3AD0C64 8D92E928
	v_mfma_scale_f32_16x16x128_f8f6f4 v[88:91], a[44:47], v[108:111], v[88:91], v26, v19 op_sel_hi:[0,0,0] cbsz:4 blgp:4// 0000000051F8: D3AC6800 0002271A D3AD0C58 8D62D92C
	buffer_load_dwordx4 a[12:15], v39, s[24:27], 0 offen       // 000000005208: E05C1000 80860C27
	v_mfma_scale_f32_16x16x128_f8f6f4 v[104:107], a[44:47], v[116:119], v[104:107], v26, v19 op_sel_hi:[0,0,0] cbsz:4 blgp:4// 000000005210: D3AC7800 0002271A D3AD0C68 8DA2E92C
	s_waitcnt vmcnt(8)                                         // 000000005220: BF8C0F78
	v_mfma_scale_f32_16x16x128_f8f6f4 v[76:79], a[48:51], v[112:115], v[76:79], v25, v19 op_sel_hi:[0,0,0] cbsz:4 blgp:4// 000000005224: D3AC6000 18022719 D3AD0C4C 8D32E130
	buffer_load_dwordx4 a[16:19], v36, s[24:27], 0 offen offset:1024// 000000005234: E05C1400 80861024
	v_mfma_scale_f32_16x16x128_f8f6f4 v[92:95], a[48:51], v[120:123], v[92:95], v25, v19 op_sel_hi:[0,0,0] cbsz:4 blgp:4// 00000000523C: D3AC7000 18022719 D3AD0C5C 8D72F130
	ds_read_b128 v[124:127], v6 offset:4224                    // 00000000524C: D9FE1080 7C000006
	ds_read_b128 v[128:131], v6 offset:4288                    // 000000005254: D9FE10C0 80000006
	v_mfma_scale_f32_16x16x128_f8f6f4 v[80:83], a[52:55], v[112:115], v[80:83], v25, v19 op_sel_hi:[0,0,0] cbsz:4 blgp:4// 00000000525C: D3AC6800 18022719 D3AD0C50 8D42E134
	buffer_load_dwordx4 a[20:23], v37, s[24:27], 0 offen offset:1024// 00000000526C: E05C1400 80861425
	v_mfma_scale_f32_16x16x128_f8f6f4 v[96:99], a[52:55], v[120:123], v[96:99], v25, v19 op_sel_hi:[0,0,0] cbsz:4 blgp:4// 000000005274: D3AC7800 18022719 D3AD0C60 8D82F134
	ds_read_b128 v[132:135], v6 offset:4736                    // 000000005284: D9FE1280 84000006
	ds_read_b128 v[136:139], v6 offset:4800                    // 00000000528C: D9FE12C0 88000006
	s_waitcnt vmcnt(8)                                         // 000000005294: BF8C0F78
	v_mfma_scale_f32_16x16x128_f8f6f4 v[84:87], a[56:59], v[112:115], v[84:87], v26, v19 op_sel_hi:[0,0,0] cbsz:4 blgp:4// 000000005298: D3AC6000 1802271A D3AD0C54 8D52E138
	buffer_load_dwordx4 a[24:27], v38, s[24:27], 0 offen offset:1024// 0000000052A8: E05C1400 80861826
	v_mfma_scale_f32_16x16x128_f8f6f4 v[100:103], a[56:59], v[120:123], v[100:103], v26, v19 op_sel_hi:[0,0,0] cbsz:4 blgp:4// 0000000052B0: D3AC7000 1802271A D3AD0C64 8D92F138
	v_mfma_scale_f32_16x16x128_f8f6f4 v[88:91], a[60:63], v[112:115], v[88:91], v26, v19 op_sel_hi:[0,0,0] cbsz:4 blgp:4// 0000000052C0: D3AC6800 1802271A D3AD0C58 8D62E13C
	buffer_load_dwordx4 a[28:31], v39, s[24:27], 0 offen offset:1024// 0000000052D0: E05C1400 80861C27
	v_mfma_scale_f32_16x16x128_f8f6f4 v[104:107], a[60:63], v[120:123], v[104:107], v26, v19 op_sel_hi:[0,0,0] cbsz:4 blgp:4// 0000000052D8: D3AC7800 1802271A D3AD0C68 8DA2F13C
	s_add_u32 s60, 0x200, s80                                  // 0000000052E8: 803C50FF 00000200
	s_cmp_lt_u32 s60, s81                                      // 0000000052F0: BF0A513C
	s_cselect_b32 s57, s57, 0                                  // 0000000052F4: 85398039
	s_cselect_b32 s3, s3, 0                                    // 0000000052F8: 85038003
	s_add_u32 s60, 0x200, s80                                  // 0000000052FC: 803C50FF 00000200
	s_cmp_lt_u32 s60, s81                                      // 000000005304: BF0A513C
	s_cselect_b32 s58, s58, 0                                  // 000000005308: 853A803A
	s_add_u32 s20, s57, s20                                    // 00000000530C: 80141439
	s_addc_u32 s21, 0, s21                                     // 000000005310: 82151580
	s_add_u32 s28, s3, s28                                     // 000000005314: 801C1C03
	s_addc_u32 s29, 0, s29                                     // 000000005318: 821D1D80
	s_add_u32 s24, s58, s24                                    // 00000000531C: 8018183A
	s_addc_u32 s25, 0, s25                                     // 000000005320: 82191980
	s_add_u32 s92, s90, s92                                    // 000000005324: 805C5C5A
	s_addc_u32 s93, 0, s93                                     // 000000005328: 825D5D80
	s_addk_i32 s80, 0x100                                      // 00000000532C: B7500100
	s_cmp_lt_i32 s80, s81                                      // 000000005330: BF045150
	s_cbranch_scc0 label_0AE9                                  // 000000005334: BF8400DB
	s_waitcnt vmcnt(6) lgkmcnt(0)                              // 000000005338: BF8C0076
	s_barrier                                                  // 00000000533C: BF8A0000
	v_mfma_scale_f32_16x16x128_f8f6f4 v[44:47], a[0:3], v[124:127], v[44:47], v23, v20 op_sel_hi:[0,0,0] cbsz:4 blgp:4// 000000005340: D3AC6000 00022917 D3AD0C2C 8CB2F900
	buffer_load_dwordx4 a[32:35], v36, s[92:95], 0 offen       // 000000005350: E05C1000 80972024
	buffer_load_dwordx4 v35, s[20:23], 0 offen lds             // 000000005358: E05D1000 80050023
	s_add_u32 m0, 0, s51                                       // 000000005360: 807C3380
	v_mfma_scale_f32_16x16x128_f8f6f4 v[60:63], a[0:3], v[132:135], v[60:63], v23, v20 op_sel_hi:[0,0,0] cbsz:4 blgp:4// 000000005364: D3AC7000 00022917 D3AD0C3C 8CF30900
	v_mfma_scale_f32_16x16x128_f8f6f4 v[48:51], a[4:7], v[124:127], v[48:51], v23, v20 op_sel_hi:[0,0,0] cbsz:4 blgp:4// 000000005374: D3AC6800 00022917 D3AD0C30 8CC2F904
	buffer_load_dwordx4 a[36:39], v37, s[92:95], 0 offen       // 000000005384: E05C1000 80972425
	buffer_load_dword v19, v12, s[28:31], 0 offen              // 00000000538C: E0501000 8007130C
	buffer_load_dword v27, v17, s[32:35], 0 offen              // 000000005394: E0501000 80081B11
	buffer_load_dword v28, v18, s[32:35], 0 offen              // 00000000539C: E0501000 80081C12
	v_mfma_scale_f32_16x16x128_f8f6f4 v[64:67], a[4:7], v[132:135], v[64:67], v23, v20 op_sel_hi:[0,0,0] cbsz:4 blgp:4// 0000000053A4: D3AC7800 00022917 D3AD0C40 8D030904
	s_waitcnt vmcnt(10)                                        // 0000000053B4: BF8C0F7A
	v_mfma_scale_f32_16x16x128_f8f6f4 v[52:55], a[8:11], v[124:127], v[52:55], v24, v20 op_sel_hi:[0,0,0] cbsz:4 blgp:4// 0000000053B8: D3AC6000 00022918 D3AD0C34 8CD2F908
	buffer_load_dwordx4 a[40:43], v38, s[92:95], 0 offen       // 0000000053C8: E05C1000 80972826
	v_mfma_scale_f32_16x16x128_f8f6f4 v[68:71], a[8:11], v[132:135], v[68:71], v24, v20 op_sel_hi:[0,0,0] cbsz:4 blgp:4// 0000000053D0: D3AC7000 00022918 D3AD0C44 8D130908
	v_mfma_scale_f32_16x16x128_f8f6f4 v[56:59], a[12:15], v[124:127], v[56:59], v24, v20 op_sel_hi:[0,0,0] cbsz:4 blgp:4// 0000000053E0: D3AC6800 00022918 D3AD0C38 8CE2F90C
	buffer_load_dwordx4 a[44:47], v39, s[92:95], 0 offen       // 0000000053F0: E05C1000 80972C27
	v_mfma_scale_f32_16x16x128_f8f6f4 v[72:75], a[12:15], v[132:135], v[72:75], v24, v20 op_sel_hi:[0,0,0] cbsz:4 blgp:4// 0000000053F8: D3AC7800 00022918 D3AD0C48 8D23090C
	s_nop 0                                                    // 000000005408: BF800000
	s_waitcnt vmcnt(10)                                        // 00000000540C: BF8C0F7A
	v_mfma_scale_f32_16x16x128_f8f6f4 v[44:47], a[16:19], v[128:131], v[44:47], v23, v20 op_sel_hi:[0,0,0] cbsz:4 blgp:4// 000000005410: D3AC6000 18022917 D3AD0C2C 8CB30110
	buffer_load_dwordx4 a[48:51], v36, s[92:95], 0 offen offset:1024// 000000005420: E05C1400 80973024
	v_mfma_scale_f32_16x16x128_f8f6f4 v[60:63], a[16:19], v[136:139], v[60:63], v23, v20 op_sel_hi:[0,0,0] cbsz:4 blgp:4// 000000005428: D3AC7000 18022917 D3AD0C3C 8CF31110
	v_mfma_scale_f32_16x16x128_f8f6f4 v[48:51], a[20:23], v[128:131], v[48:51], v23, v20 op_sel_hi:[0,0,0] cbsz:4 blgp:4// 000000005438: D3AC6800 18022917 D3AD0C30 8CC30114
	buffer_load_dwordx4 a[52:55], v37, s[92:95], 0 offen offset:1024// 000000005448: E05C1400 80973425
	v_mfma_scale_f32_16x16x128_f8f6f4 v[64:67], a[20:23], v[136:139], v[64:67], v23, v20 op_sel_hi:[0,0,0] cbsz:4 blgp:4// 000000005450: D3AC7800 18022917 D3AD0C40 8D031114
	s_waitcnt vmcnt(10)                                        // 000000005460: BF8C0F7A
	v_mfma_scale_f32_16x16x128_f8f6f4 v[52:55], a[24:27], v[128:131], v[52:55], v24, v20 op_sel_hi:[0,0,0] cbsz:4 blgp:4// 000000005464: D3AC6000 18022918 D3AD0C34 8CD30118
	buffer_load_dwordx4 a[56:59], v38, s[92:95], 0 offen offset:1024// 000000005474: E05C1400 80973826
	v_mfma_scale_f32_16x16x128_f8f6f4 v[68:71], a[24:27], v[136:139], v[68:71], v24, v20 op_sel_hi:[0,0,0] cbsz:4 blgp:4// 00000000547C: D3AC7000 18022918 D3AD0C44 8D131118
	v_mfma_scale_f32_16x16x128_f8f6f4 v[56:59], a[28:31], v[128:131], v[56:59], v24, v20 op_sel_hi:[0,0,0] cbsz:4 blgp:4// 00000000548C: D3AC6800 18022918 D3AD0C38 8CE3011C
	buffer_load_dwordx4 a[60:63], v39, s[92:95], 0 offen offset:1024// 00000000549C: E05C1400 80973C27
	v_mfma_scale_f32_16x16x128_f8f6f4 v[72:75], a[28:31], v[136:139], v[72:75], v24, v20 op_sel_hi:[0,0,0] cbsz:4 blgp:4// 0000000054A4: D3AC7800 18022918 D3AD0C48 8D23111C
	s_add_u32 s60, 0x100, s80                                  // 0000000054B4: 803C50FF 00000100
	s_cmp_lt_u32 s60, s81                                      // 0000000054BC: BF0A513C
	s_cselect_b32 s4, s4, 0                                    // 0000000054C0: 85048004
	s_add_u32 s32, s4, s32                                     // 0000000054C4: 80202004
	s_addc_u32 s33, 0, s33                                     // 0000000054C8: 82212180
	s_waitcnt vmcnt(6)                                         // 0000000054CC: BF8C0F76
	s_barrier                                                  // 0000000054D0: BF8A0000
	v_mfma_scale_f32_16x16x128_f8f6f4 v[76:79], a[32:35], v[124:127], v[76:79], v27, v20 op_sel_hi:[0,0,0] cbsz:4 blgp:4// 0000000054D4: D3AC6000 0002291B D3AD0C4C 8D32F920
	buffer_load_dwordx4 a[0:3], v36, s[24:27], 0 offen         // 0000000054E4: E05C1000 80860024
	buffer_load_dword v21, v15, s[32:35], 0 offen              // 0000000054EC: E0501000 8008150F
	buffer_load_dword v22, v16, s[32:35], 0 offen              // 0000000054F4: E0501000 80081610
	v_mfma_scale_f32_16x16x128_f8f6f4 v[92:95], a[32:35], v[132:135], v[92:95], v27, v20 op_sel_hi:[0,0,0] cbsz:4 blgp:4// 0000000054FC: D3AC7000 0002291B D3AD0C5C 8D730920
	v_mfma_scale_f32_16x16x128_f8f6f4 v[80:83], a[36:39], v[124:127], v[80:83], v27, v20 op_sel_hi:[0,0,0] cbsz:4 blgp:4// 00000000550C: D3AC6800 0002291B D3AD0C50 8D42F924
	buffer_load_dwordx4 a[4:7], v37, s[24:27], 0 offen         // 00000000551C: E05C1000 80860425
	v_mfma_scale_f32_16x16x128_f8f6f4 v[96:99], a[36:39], v[132:135], v[96:99], v27, v20 op_sel_hi:[0,0,0] cbsz:4 blgp:4// 000000005524: D3AC7800 0002291B D3AD0C60 8D830924
	s_waitcnt vmcnt(8)                                         // 000000005534: BF8C0F78
	v_mfma_scale_f32_16x16x128_f8f6f4 v[84:87], a[40:43], v[124:127], v[84:87], v28, v20 op_sel_hi:[0,0,0] cbsz:4 blgp:4// 000000005538: D3AC6000 0002291C D3AD0C54 8D52F928
	buffer_load_dwordx4 a[8:11], v38, s[24:27], 0 offen        // 000000005548: E05C1000 80860826
	v_mfma_scale_f32_16x16x128_f8f6f4 v[100:103], a[40:43], v[132:135], v[100:103], v28, v20 op_sel_hi:[0,0,0] cbsz:4 blgp:4// 000000005550: D3AC7000 0002291C D3AD0C64 8D930928
	v_mfma_scale_f32_16x16x128_f8f6f4 v[88:91], a[44:47], v[124:127], v[88:91], v28, v20 op_sel_hi:[0,0,0] cbsz:4 blgp:4// 000000005560: D3AC6800 0002291C D3AD0C58 8D62F92C
	buffer_load_dwordx4 a[12:15], v39, s[24:27], 0 offen       // 000000005570: E05C1000 80860C27
	v_mfma_scale_f32_16x16x128_f8f6f4 v[104:107], a[44:47], v[132:135], v[104:107], v28, v20 op_sel_hi:[0,0,0] cbsz:4 blgp:4// 000000005578: D3AC7800 0002291C D3AD0C68 8DA3092C
	s_waitcnt vmcnt(8)                                         // 000000005588: BF8C0F78
	v_mfma_scale_f32_16x16x128_f8f6f4 v[76:79], a[48:51], v[128:131], v[76:79], v27, v20 op_sel_hi:[0,0,0] cbsz:4 blgp:4// 00000000558C: D3AC6000 1802291B D3AD0C4C 8D330130
	buffer_load_dwordx4 a[16:19], v36, s[24:27], 0 offen offset:1024// 00000000559C: E05C1400 80861024
	v_mfma_scale_f32_16x16x128_f8f6f4 v[92:95], a[48:51], v[136:139], v[92:95], v27, v20 op_sel_hi:[0,0,0] cbsz:4 blgp:4// 0000000055A4: D3AC7000 1802291B D3AD0C5C 8D731130
	ds_read_b128 v[108:111], v6                                // 0000000055B4: D9FE0000 6C000006
	ds_read_b128 v[112:115], v6 offset:64                      // 0000000055BC: D9FE0040 70000006
	v_mfma_scale_f32_16x16x128_f8f6f4 v[80:83], a[52:55], v[128:131], v[80:83], v27, v20 op_sel_hi:[0,0,0] cbsz:4 blgp:4// 0000000055C4: D3AC6800 1802291B D3AD0C50 8D430134
	buffer_load_dwordx4 a[20:23], v37, s[24:27], 0 offen offset:1024// 0000000055D4: E05C1400 80861425
	v_mfma_scale_f32_16x16x128_f8f6f4 v[96:99], a[52:55], v[136:139], v[96:99], v27, v20 op_sel_hi:[0,0,0] cbsz:4 blgp:4// 0000000055DC: D3AC7800 1802291B D3AD0C60 8D831134
	ds_read_b128 v[116:119], v6 offset:512                     // 0000000055EC: D9FE0200 74000006
	ds_read_b128 v[120:123], v6 offset:576                     // 0000000055F4: D9FE0240 78000006
	s_waitcnt vmcnt(8)                                         // 0000000055FC: BF8C0F78
	v_mfma_scale_f32_16x16x128_f8f6f4 v[84:87], a[56:59], v[128:131], v[84:87], v28, v20 op_sel_hi:[0,0,0] cbsz:4 blgp:4// 000000005600: D3AC6000 1802291C D3AD0C54 8D530138
	buffer_load_dwordx4 a[24:27], v38, s[24:27], 0 offen offset:1024// 000000005610: E05C1400 80861826
	v_mfma_scale_f32_16x16x128_f8f6f4 v[100:103], a[56:59], v[136:139], v[100:103], v28, v20 op_sel_hi:[0,0,0] cbsz:4 blgp:4// 000000005618: D3AC7000 1802291C D3AD0C64 8D931138
	v_mfma_scale_f32_16x16x128_f8f6f4 v[88:91], a[60:63], v[128:131], v[88:91], v28, v20 op_sel_hi:[0,0,0] cbsz:4 blgp:4// 000000005628: D3AC6800 1802291C D3AD0C58 8D63013C
	buffer_load_dwordx4 a[28:31], v39, s[24:27], 0 offen offset:1024// 000000005638: E05C1400 80861C27
	v_mfma_scale_f32_16x16x128_f8f6f4 v[104:107], a[60:63], v[136:139], v[104:107], v28, v20 op_sel_hi:[0,0,0] cbsz:4 blgp:4// 000000005640: D3AC7800 1802291C D3AD0C68 8DA3113C
	s_add_u32 s60, 0x200, s80                                  // 000000005650: 803C50FF 00000200
	s_cmp_lt_u32 s60, s81                                      // 000000005658: BF0A513C
	s_cselect_b32 s57, s57, 0                                  // 00000000565C: 85398039
	s_cselect_b32 s3, s3, 0                                    // 000000005660: 85038003
	s_add_u32 s60, 0x200, s80                                  // 000000005664: 803C50FF 00000200
	s_cmp_lt_u32 s60, s81                                      // 00000000566C: BF0A513C
	s_cselect_b32 s58, s58, 0                                  // 000000005670: 853A803A
	s_add_u32 s20, s57, s20                                    // 000000005674: 80141439
	s_addc_u32 s21, 0, s21                                     // 000000005678: 82151580
	s_add_u32 s28, s3, s28                                     // 00000000567C: 801C1C03
	s_addc_u32 s29, 0, s29                                     // 000000005680: 821D1D80
	s_add_u32 s24, s58, s24                                    // 000000005684: 8018183A
	s_addc_u32 s25, 0, s25                                     // 000000005688: 82191980
	s_add_u32 s92, s90, s92                                    // 00000000568C: 805C5C5A
	s_addc_u32 s93, 0, s93                                     // 000000005690: 825D5D80
	s_addk_i32 s80, 0x100                                      // 000000005694: B7500100
	s_cmp_lt_i32 s80, s81                                      // 000000005698: BF045150
	s_cbranch_scc0 label_0AE9                                  // 00000000569C: BF840001
	s_branch label_0934                                        // 0000000056A0: BF82FE4B

00000000000056a4 <label_0AE9>:
	s_mov_b32 s20, 0                                           // 0000000056A4: BE940080
	s_cmp_lt_u32 s89, s66                                      // 0000000056A8: BF0A4259
	s_cselect_b32 s60, 0, 1                                    // 0000000056AC: 853C8180
	s_lshl1_add_u32 s20, s20, s60                              // 0000000056B0: 97143C14
	s_cmp_lt_u32 s88, s66                                      // 0000000056B4: BF0A4258
	s_cselect_b32 s60, 0, 1                                    // 0000000056B8: 853C8180
	s_lshl1_add_u32 s20, s20, s60                              // 0000000056BC: 97143C14
	s_cmp_lt_u32 s87, s66                                      // 0000000056C0: BF0A4257
	s_cselect_b32 s60, 0, 1                                    // 0000000056C4: 853C8180
	s_lshl1_add_u32 s20, s20, s60                              // 0000000056C8: 97143C14
	s_cmp_lt_u32 s86, s66                                      // 0000000056CC: BF0A4256
	s_cselect_b32 s60, 0, 1                                    // 0000000056D0: 853C8180
	s_lshl1_add_u32 s20, s20, s60                              // 0000000056D4: 97143C14
	s_cmp_lt_u32 s85, s66                                      // 0000000056D8: BF0A4255
	s_cselect_b32 s60, 0, 1                                    // 0000000056DC: 853C8180
	s_lshl1_add_u32 s20, s20, s60                              // 0000000056E0: 97143C14
	s_cmp_lt_u32 s84, s66                                      // 0000000056E4: BF0A4254
	s_cselect_b32 s60, 0, 1                                    // 0000000056E8: 853C8180
	s_lshl1_add_u32 s20, s20, s60                              // 0000000056EC: 97143C14
	s_cmp_lt_u32 s83, s66                                      // 0000000056F0: BF0A4253
	s_cselect_b32 s60, 0, 1                                    // 0000000056F4: 853C8180
	s_lshl1_add_u32 s20, s20, s60                              // 0000000056F8: 97143C14
	s_cmp_lt_u32 s82, s66                                      // 0000000056FC: BF0A4252
	s_cselect_b32 s60, 0, 1                                    // 000000005700: 853C8180
	s_lshl1_add_u32 s20, s20, s60                              // 000000005704: 97143C14
	v_mov_b32_e32 v1, 0xbfcc4231                               // 000000005708: 7E0202FF BFCC4231
	s_waitcnt vmcnt(6)                                         // 000000005710: BF8C0F76
	buffer_load_dwordx4 a[0:3], v40, s[12:15], 0 offen         // 000000005714: E05C1000 80830028
	v_mul_f32_e64 v2, -v44, s6                                 // 00000000571C: D1050002 20000D2C
	v_mul_f32_e64 v3, -v45, s6                                 // 000000005724: D1050003 20000D2D
	v_mul_f32_e64 v4, -v46, s6                                 // 00000000572C: D1050004 20000D2E
	v_mul_f32_e64 v5, -v47, s6                                 // 000000005734: D1050005 20000D2F
	v_exp_f32_e32 v2, v2                                       // 00000000573C: 7E044102
	v_exp_f32_e32 v3, v3                                       // 000000005740: 7E064103
	v_exp_f32_e32 v4, v4                                       // 000000005744: 7E084104
	v_exp_f32_e32 v5, v5                                       // 000000005748: 7E0A4105
	buffer_load_dwordx4 a[4:7], v41, s[12:15], 0 offen         // 00000000574C: E05C1000 80830429
	v_add_f32_e64 v2, v2, 1.0                                  // 000000005754: D1010002 0001E502
	v_add_f32_e64 v3, v3, 1.0                                  // 00000000575C: D1010003 0001E503
	v_add_f32_e64 v4, v4, 1.0                                  // 000000005764: D1010004 0001E504
	v_add_f32_e64 v5, v5, 1.0                                  // 00000000576C: D1010005 0001E505
	v_rcp_f32_e32 v2, v2                                       // 000000005774: 7E044502
	v_rcp_f32_e32 v3, v3                                       // 000000005778: 7E064503
	v_rcp_f32_e32 v4, v4                                       // 00000000577C: 7E084504
	v_rcp_f32_e32 v5, v5                                       // 000000005780: 7E0A4505
	v_mul_f32_e32 v44, v44, v2                                 // 000000005784: 0A58052C
	v_mul_f32_e32 v45, v45, v3                                 // 000000005788: 0A5A072D
	v_mul_f32_e32 v46, v46, v4                                 // 00000000578C: 0A5C092E
	v_mul_f32_e32 v47, v47, v5                                 // 000000005790: 0A5E0B2F
	v_mul_f32_e32 v44, v44, v76                                // 000000005794: 0A58992C
	v_mul_f32_e32 v45, v45, v77                                // 000000005798: 0A5A9B2D
	v_mul_f32_e32 v46, v46, v78                                // 00000000579C: 0A5C9D2E
	v_mul_f32_e32 v47, v47, v79                                // 0000000057A0: 0A5E9F2F
	s_waitcnt vmcnt(6)                                         // 0000000057A4: BF8C0F76
	buffer_load_dwordx4 a[8:11], v42, s[12:15], 0 offen        // 0000000057A8: E05C1000 8083082A
	v_mul_f32_e64 v2, -v48, s6                                 // 0000000057B0: D1050002 20000D30
	v_mul_f32_e64 v3, -v49, s6                                 // 0000000057B8: D1050003 20000D31
	v_mul_f32_e64 v4, -v50, s6                                 // 0000000057C0: D1050004 20000D32
	v_mul_f32_e64 v5, -v51, s6                                 // 0000000057C8: D1050005 20000D33
	v_exp_f32_e32 v2, v2                                       // 0000000057D0: 7E044102
	v_exp_f32_e32 v3, v3                                       // 0000000057D4: 7E064103
	v_exp_f32_e32 v4, v4                                       // 0000000057D8: 7E084104
	v_exp_f32_e32 v5, v5                                       // 0000000057DC: 7E0A4105
	buffer_load_dwordx4 a[12:15], v43, s[12:15], 0 offen       // 0000000057E0: E05C1000 80830C2B
	v_add_f32_e64 v2, v2, 1.0                                  // 0000000057E8: D1010002 0001E502
	v_add_f32_e64 v3, v3, 1.0                                  // 0000000057F0: D1010003 0001E503
	v_add_f32_e64 v4, v4, 1.0                                  // 0000000057F8: D1010004 0001E504
	v_add_f32_e64 v5, v5, 1.0                                  // 000000005800: D1010005 0001E505
	v_rcp_f32_e32 v2, v2                                       // 000000005808: 7E044502
	v_rcp_f32_e32 v3, v3                                       // 00000000580C: 7E064503
	v_rcp_f32_e32 v4, v4                                       // 000000005810: 7E084504
	v_rcp_f32_e32 v5, v5                                       // 000000005814: 7E0A4505
	v_mul_f32_e32 v48, v48, v2                                 // 000000005818: 0A600530
	v_mul_f32_e32 v49, v49, v3                                 // 00000000581C: 0A620731
	v_mul_f32_e32 v50, v50, v4                                 // 000000005820: 0A640932
	v_mul_f32_e32 v51, v51, v5                                 // 000000005824: 0A660B33
	v_mul_f32_e32 v48, v48, v80                                // 000000005828: 0A60A130
	v_mul_f32_e32 v49, v49, v81                                // 00000000582C: 0A62A331
	v_mul_f32_e32 v50, v50, v82                                // 000000005830: 0A64A532
	v_mul_f32_e32 v51, v51, v83                                // 000000005834: 0A66A733
	s_waitcnt vmcnt(6)                                         // 000000005838: BF8C0F76
	buffer_load_dwordx4 a[16:19], v40, s[12:15], 0 offen offset:1024// 00000000583C: E05C1400 80831028
	v_mul_f32_e64 v2, -v52, s6                                 // 000000005844: D1050002 20000D34
	v_mul_f32_e64 v3, -v53, s6                                 // 00000000584C: D1050003 20000D35
	v_mul_f32_e64 v4, -v54, s6                                 // 000000005854: D1050004 20000D36
	v_mul_f32_e64 v5, -v55, s6                                 // 00000000585C: D1050005 20000D37
	v_exp_f32_e32 v2, v2                                       // 000000005864: 7E044102
	v_exp_f32_e32 v3, v3                                       // 000000005868: 7E064103
	v_exp_f32_e32 v4, v4                                       // 00000000586C: 7E084104
	v_exp_f32_e32 v5, v5                                       // 000000005870: 7E0A4105
	buffer_load_dwordx4 a[20:23], v41, s[12:15], 0 offen offset:1024// 000000005874: E05C1400 80831429
	v_add_f32_e64 v2, v2, 1.0                                  // 00000000587C: D1010002 0001E502
	v_add_f32_e64 v3, v3, 1.0                                  // 000000005884: D1010003 0001E503
	v_add_f32_e64 v4, v4, 1.0                                  // 00000000588C: D1010004 0001E504
	v_add_f32_e64 v5, v5, 1.0                                  // 000000005894: D1010005 0001E505
	v_rcp_f32_e32 v2, v2                                       // 00000000589C: 7E044502
	v_rcp_f32_e32 v3, v3                                       // 0000000058A0: 7E064503
	v_rcp_f32_e32 v4, v4                                       // 0000000058A4: 7E084504
	v_rcp_f32_e32 v5, v5                                       // 0000000058A8: 7E0A4505
	v_mul_f32_e32 v52, v52, v2                                 // 0000000058AC: 0A680534
	v_mul_f32_e32 v53, v53, v3                                 // 0000000058B0: 0A6A0735
	v_mul_f32_e32 v54, v54, v4                                 // 0000000058B4: 0A6C0936
	v_mul_f32_e32 v55, v55, v5                                 // 0000000058B8: 0A6E0B37
	v_mul_f32_e32 v52, v52, v84                                // 0000000058BC: 0A68A934
	v_mul_f32_e32 v53, v53, v85                                // 0000000058C0: 0A6AAB35
	v_mul_f32_e32 v54, v54, v86                                // 0000000058C4: 0A6CAD36
	v_mul_f32_e32 v55, v55, v87                                // 0000000058C8: 0A6EAF37
	s_waitcnt vmcnt(6)                                         // 0000000058CC: BF8C0F76
	buffer_load_dwordx4 a[24:27], v42, s[12:15], 0 offen offset:1024// 0000000058D0: E05C1400 8083182A
	v_mul_f32_e64 v2, -v56, s6                                 // 0000000058D8: D1050002 20000D38
	v_mul_f32_e64 v3, -v57, s6                                 // 0000000058E0: D1050003 20000D39
	v_mul_f32_e64 v4, -v58, s6                                 // 0000000058E8: D1050004 20000D3A
	v_mul_f32_e64 v5, -v59, s6                                 // 0000000058F0: D1050005 20000D3B
	v_exp_f32_e32 v2, v2                                       // 0000000058F8: 7E044102
	v_exp_f32_e32 v3, v3                                       // 0000000058FC: 7E064103
	v_exp_f32_e32 v4, v4                                       // 000000005900: 7E084104
	v_exp_f32_e32 v5, v5                                       // 000000005904: 7E0A4105
	buffer_load_dwordx4 a[28:31], v43, s[12:15], 0 offen offset:1024// 000000005908: E05C1400 80831C2B
	v_add_f32_e64 v2, v2, 1.0                                  // 000000005910: D1010002 0001E502
	v_add_f32_e64 v3, v3, 1.0                                  // 000000005918: D1010003 0001E503
	v_add_f32_e64 v4, v4, 1.0                                  // 000000005920: D1010004 0001E504
	v_add_f32_e64 v5, v5, 1.0                                  // 000000005928: D1010005 0001E505
	v_rcp_f32_e32 v2, v2                                       // 000000005930: 7E044502
	v_rcp_f32_e32 v3, v3                                       // 000000005934: 7E064503
	v_rcp_f32_e32 v4, v4                                       // 000000005938: 7E084504
	v_rcp_f32_e32 v5, v5                                       // 00000000593C: 7E0A4505
	v_mul_f32_e32 v56, v56, v2                                 // 000000005940: 0A700538
	v_mul_f32_e32 v57, v57, v3                                 // 000000005944: 0A720739
	v_mul_f32_e32 v58, v58, v4                                 // 000000005948: 0A74093A
	v_mul_f32_e32 v59, v59, v5                                 // 00000000594C: 0A760B3B
	v_mul_f32_e32 v56, v56, v88                                // 000000005950: 0A70B138
	v_mul_f32_e32 v57, v57, v89                                // 000000005954: 0A72B339
	v_mul_f32_e32 v58, v58, v90                                // 000000005958: 0A74B53A
	v_mul_f32_e32 v59, v59, v91                                // 00000000595C: 0A76B73B
	s_waitcnt vmcnt(6)                                         // 000000005960: BF8C0F76
	v_mul_f32_e64 v2, -v60, s6                                 // 000000005964: D1050002 20000D3C
	v_mul_f32_e64 v3, -v61, s6                                 // 00000000596C: D1050003 20000D3D
	v_mul_f32_e64 v4, -v62, s6                                 // 000000005974: D1050004 20000D3E
	v_mul_f32_e64 v5, -v63, s6                                 // 00000000597C: D1050005 20000D3F
	v_exp_f32_e32 v2, v2                                       // 000000005984: 7E044102
	v_exp_f32_e32 v3, v3                                       // 000000005988: 7E064103
	v_exp_f32_e32 v4, v4                                       // 00000000598C: 7E084104
	v_exp_f32_e32 v5, v5                                       // 000000005990: 7E0A4105
	v_add_f32_e64 v2, v2, 1.0                                  // 000000005994: D1010002 0001E502
	v_add_f32_e64 v3, v3, 1.0                                  // 00000000599C: D1010003 0001E503
	v_add_f32_e64 v4, v4, 1.0                                  // 0000000059A4: D1010004 0001E504
	v_add_f32_e64 v5, v5, 1.0                                  // 0000000059AC: D1010005 0001E505
	v_rcp_f32_e32 v2, v2                                       // 0000000059B4: 7E044502
	v_rcp_f32_e32 v3, v3                                       // 0000000059B8: 7E064503
	v_rcp_f32_e32 v4, v4                                       // 0000000059BC: 7E084504
	v_rcp_f32_e32 v5, v5                                       // 0000000059C0: 7E0A4505
	v_mul_f32_e32 v60, v60, v2                                 // 0000000059C4: 0A78053C
	v_mul_f32_e32 v61, v61, v3                                 // 0000000059C8: 0A7A073D
	v_mul_f32_e32 v62, v62, v4                                 // 0000000059CC: 0A7C093E
	v_mul_f32_e32 v63, v63, v5                                 // 0000000059D0: 0A7E0B3F
	v_mul_f32_e32 v60, v60, v92                                // 0000000059D4: 0A78B93C
	v_mul_f32_e32 v61, v61, v93                                // 0000000059D8: 0A7ABB3D
	v_mul_f32_e32 v62, v62, v94                                // 0000000059DC: 0A7CBD3E
	v_mul_f32_e32 v63, v63, v95                                // 0000000059E0: 0A7EBF3F
	s_waitcnt vmcnt(6)                                         // 0000000059E4: BF8C0F76
	v_mul_f32_e64 v2, -v64, s6                                 // 0000000059E8: D1050002 20000D40
	v_mul_f32_e64 v3, -v65, s6                                 // 0000000059F0: D1050003 20000D41
	v_mul_f32_e64 v4, -v66, s6                                 // 0000000059F8: D1050004 20000D42
	v_mul_f32_e64 v5, -v67, s6                                 // 000000005A00: D1050005 20000D43
	v_exp_f32_e32 v2, v2                                       // 000000005A08: 7E044102
	v_exp_f32_e32 v3, v3                                       // 000000005A0C: 7E064103
	v_exp_f32_e32 v4, v4                                       // 000000005A10: 7E084104
	v_exp_f32_e32 v5, v5                                       // 000000005A14: 7E0A4105
	v_add_f32_e64 v2, v2, 1.0                                  // 000000005A18: D1010002 0001E502
	v_add_f32_e64 v3, v3, 1.0                                  // 000000005A20: D1010003 0001E503
	v_add_f32_e64 v4, v4, 1.0                                  // 000000005A28: D1010004 0001E504
	v_add_f32_e64 v5, v5, 1.0                                  // 000000005A30: D1010005 0001E505
	v_rcp_f32_e32 v2, v2                                       // 000000005A38: 7E044502
	v_rcp_f32_e32 v3, v3                                       // 000000005A3C: 7E064503
	v_rcp_f32_e32 v4, v4                                       // 000000005A40: 7E084504
	v_rcp_f32_e32 v5, v5                                       // 000000005A44: 7E0A4505
	v_mul_f32_e32 v64, v64, v2                                 // 000000005A48: 0A800540
	v_mul_f32_e32 v65, v65, v3                                 // 000000005A4C: 0A820741
	v_mul_f32_e32 v66, v66, v4                                 // 000000005A50: 0A840942
	v_mul_f32_e32 v67, v67, v5                                 // 000000005A54: 0A860B43
	v_mul_f32_e32 v64, v64, v96                                // 000000005A58: 0A80C140
	v_mul_f32_e32 v65, v65, v97                                // 000000005A5C: 0A82C341
	v_mul_f32_e32 v66, v66, v98                                // 000000005A60: 0A84C542
	v_mul_f32_e32 v67, v67, v99                                // 000000005A64: 0A86C743
	s_waitcnt vmcnt(6)                                         // 000000005A68: BF8C0F76
	v_mul_f32_e64 v2, -v68, s6                                 // 000000005A6C: D1050002 20000D44
	v_mul_f32_e64 v3, -v69, s6                                 // 000000005A74: D1050003 20000D45
	v_mul_f32_e64 v4, -v70, s6                                 // 000000005A7C: D1050004 20000D46
	v_mul_f32_e64 v5, -v71, s6                                 // 000000005A84: D1050005 20000D47
	v_exp_f32_e32 v2, v2                                       // 000000005A8C: 7E044102
	v_exp_f32_e32 v3, v3                                       // 000000005A90: 7E064103
	v_exp_f32_e32 v4, v4                                       // 000000005A94: 7E084104
	v_exp_f32_e32 v5, v5                                       // 000000005A98: 7E0A4105
	v_add_f32_e64 v2, v2, 1.0                                  // 000000005A9C: D1010002 0001E502
	v_add_f32_e64 v3, v3, 1.0                                  // 000000005AA4: D1010003 0001E503
	v_add_f32_e64 v4, v4, 1.0                                  // 000000005AAC: D1010004 0001E504
	v_add_f32_e64 v5, v5, 1.0                                  // 000000005AB4: D1010005 0001E505
	v_rcp_f32_e32 v2, v2                                       // 000000005ABC: 7E044502
	v_rcp_f32_e32 v3, v3                                       // 000000005AC0: 7E064503
	v_rcp_f32_e32 v4, v4                                       // 000000005AC4: 7E084504
	v_rcp_f32_e32 v5, v5                                       // 000000005AC8: 7E0A4505
	v_mul_f32_e32 v68, v68, v2                                 // 000000005ACC: 0A880544
	v_mul_f32_e32 v69, v69, v3                                 // 000000005AD0: 0A8A0745
	v_mul_f32_e32 v70, v70, v4                                 // 000000005AD4: 0A8C0946
	v_mul_f32_e32 v71, v71, v5                                 // 000000005AD8: 0A8E0B47
	v_mul_f32_e32 v68, v68, v100                               // 000000005ADC: 0A88C944
	v_mul_f32_e32 v69, v69, v101                               // 000000005AE0: 0A8ACB45
	v_mul_f32_e32 v70, v70, v102                               // 000000005AE4: 0A8CCD46
	v_mul_f32_e32 v71, v71, v103                               // 000000005AE8: 0A8ECF47
	s_waitcnt vmcnt(6)                                         // 000000005AEC: BF8C0F76
	v_mul_f32_e64 v2, -v72, s6                                 // 000000005AF0: D1050002 20000D48
	v_mul_f32_e64 v3, -v73, s6                                 // 000000005AF8: D1050003 20000D49
	v_mul_f32_e64 v4, -v74, s6                                 // 000000005B00: D1050004 20000D4A
	v_mul_f32_e64 v5, -v75, s6                                 // 000000005B08: D1050005 20000D4B
	v_exp_f32_e32 v2, v2                                       // 000000005B10: 7E044102
	v_exp_f32_e32 v3, v3                                       // 000000005B14: 7E064103
	v_exp_f32_e32 v4, v4                                       // 000000005B18: 7E084104
	v_exp_f32_e32 v5, v5                                       // 000000005B1C: 7E0A4105
	v_add_f32_e64 v2, v2, 1.0                                  // 000000005B20: D1010002 0001E502
	v_add_f32_e64 v3, v3, 1.0                                  // 000000005B28: D1010003 0001E503
	v_add_f32_e64 v4, v4, 1.0                                  // 000000005B30: D1010004 0001E504
	v_add_f32_e64 v5, v5, 1.0                                  // 000000005B38: D1010005 0001E505
	v_rcp_f32_e32 v2, v2                                       // 000000005B40: 7E044502
	v_rcp_f32_e32 v3, v3                                       // 000000005B44: 7E064503
	v_rcp_f32_e32 v4, v4                                       // 000000005B48: 7E084504
	v_rcp_f32_e32 v5, v5                                       // 000000005B4C: 7E0A4505
	v_mul_f32_e32 v72, v72, v2                                 // 000000005B50: 0A900548
	v_mul_f32_e32 v73, v73, v3                                 // 000000005B54: 0A920749
	v_mul_f32_e32 v74, v74, v4                                 // 000000005B58: 0A94094A
	v_mul_f32_e32 v75, v75, v5                                 // 000000005B5C: 0A960B4B
	v_mul_f32_e32 v72, v72, v104                               // 000000005B60: 0A90D148
	v_mul_f32_e32 v73, v73, v105                               // 000000005B64: 0A92D349
	v_mul_f32_e32 v74, v74, v106                               // 000000005B68: 0A94D54A
	v_mul_f32_e32 v75, v75, v107                               // 000000005B6C: 0A96D74B
	v_lshlrev_b32_e32 v2, 2, v0                                // 000000005B70: 24040082
	s_mul_i32 s60, s82, s71                                    // 000000005B74: 923C4752
	v_add_u32_e64 v92, v2, s60                                 // 000000005B78: D134005C 00007902
	v_mov_b32_e32 v93, 0                                       // 000000005B80: 7EBA0280
	s_mul_i32 s60, s83, s71                                    // 000000005B84: 923C4753
	v_add_u32_e64 v94, v2, s60                                 // 000000005B88: D134005E 00007902
	v_mov_b32_e32 v95, 0                                       // 000000005B90: 7EBE0280
	s_mul_i32 s60, s84, s71                                    // 000000005B94: 923C4754
	v_add_u32_e64 v96, v2, s60                                 // 000000005B98: D1340060 00007902
	v_mov_b32_e32 v97, 0                                       // 000000005BA0: 7EC20280
	s_mul_i32 s60, s85, s71                                    // 000000005BA4: 923C4755
	v_add_u32_e64 v98, v2, s60                                 // 000000005BA8: D1340062 00007902
	v_mov_b32_e32 v99, 0                                       // 000000005BB0: 7EC60280
	s_mul_i32 s60, s86, s71                                    // 000000005BB4: 923C4756
	v_add_u32_e64 v100, v2, s60                                // 000000005BB8: D1340064 00007902
	v_mov_b32_e32 v101, 0                                      // 000000005BC0: 7ECA0280
	s_mul_i32 s60, s87, s71                                    // 000000005BC4: 923C4757
	v_add_u32_e64 v102, v2, s60                                // 000000005BC8: D1340066 00007902
	v_mov_b32_e32 v103, 0                                      // 000000005BD0: 7ECE0280
	s_mul_i32 s60, s88, s71                                    // 000000005BD4: 923C4758
	v_add_u32_e64 v104, v2, s60                                // 000000005BD8: D1340068 00007902
	v_mov_b32_e32 v105, 0                                      // 000000005BE0: 7ED20280
	s_mul_i32 s60, s89, s71                                    // 000000005BE4: 923C4759
	v_add_u32_e64 v106, v2, s60                                // 000000005BE8: D134006A 00007902
	v_mov_b32_e32 v107, 0                                      // 000000005BF0: 7ED60280
	buffer_load_dword v21, v10, s[16:19], 0 offen              // 000000005BF4: E0501000 8004150A
	buffer_load_dword v22, v11, s[16:19], 0 offen              // 000000005BFC: E0501000 8004160B
	v_mov_b32_e32 v31, 0x358637bd                              // 000000005C04: 7E3E02FF 358637BD
	v_mov_b32_e32 v32, 0x358637bd                              // 000000005C0C: 7E4002FF 358637BD
	v_max3_f32 v31, |v44|, |v45|, v31                          // 000000005C14: D1D3031F 047E5B2C
	v_max3_f32 v31, |v46|, |v47|, v31                          // 000000005C1C: D1D3031F 047E5F2E
	v_max3_f32 v31, |v48|, |v49|, v31                          // 000000005C24: D1D3031F 047E6330
	v_max3_f32 v31, |v50|, |v51|, v31                          // 000000005C2C: D1D3031F 047E6732
	v_max3_f32 v32, |v60|, |v61|, v32                          // 000000005C34: D1D30320 04827B3C
	v_max3_f32 v32, |v62|, |v63|, v32                          // 000000005C3C: D1D30320 04827F3E
	v_max3_f32 v32, |v64|, |v65|, v32                          // 000000005C44: D1D30320 04828340
	v_max3_f32 v32, |v66|, |v67|, v32                          // 000000005C4C: D1D30320 04828742
	v_mov_b32_e32 v2, v31                                      // 000000005C54: 7E04031F
	s_nop 1                                                    // 000000005C58: BF800001
	v_permlane32_swap_b32_e32 v2, v31                          // 000000005C5C: 7E04B51F
	v_max_f32_e32 v31, v2, v31                                 // 000000005C60: 163E3F02
	v_mov_b32_e32 v2, v31                                      // 000000005C64: 7E04031F
	s_nop 1                                                    // 000000005C68: BF800001
	v_permlane16_swap_b32_e32 v2, v31                          // 000000005C6C: 7E04B31F
	v_max_f32_e32 v31, v2, v31                                 // 000000005C70: 163E3F02
	v_mov_b32_e32 v2, v32                                      // 000000005C74: 7E040320
	s_nop 1                                                    // 000000005C78: BF800001
	v_permlane32_swap_b32_e32 v2, v32                          // 000000005C7C: 7E04B520
	v_max_f32_e32 v32, v2, v32                                 // 000000005C80: 16404102
	v_mov_b32_e32 v2, v32                                      // 000000005C84: 7E040320
	s_nop 1                                                    // 000000005C88: BF800001
	v_permlane16_swap_b32_e32 v2, v32                          // 000000005C8C: 7E04B320
	v_max_f32_e32 v32, v2, v32                                 // 000000005C90: 16404102
	v_mov_b32_e32 v2, 0x3e800000                               // 000000005C94: 7E0402FF 3E800000
	v_mul_f32_e32 v31, v2, v31                                 // 000000005C9C: 0A3E3F02
	v_mul_f32_e32 v32, v2, v32                                 // 000000005CA0: 0A404102
	v_mov_b32_e32 v1, 0x7fff0000                               // 000000005CA4: 7E0202FF 7FFF0000
	v_mov_b32_e32 v5, 0x7fbfffff                               // 000000005CAC: 7E0A02FF 7FBFFFFF
	v_bfe_u32 v2, v31, 22, 1                                   // 000000005CB4: D1C80002 02052D1F
	v_and_b32_e32 v3, v31, v5                                  // 000000005CBC: 26060B1F
	v_cmp_eq_u32_e64 s[60:61], v3, 0                           // 000000005CC0: D0CA003C 00010103
	v_cndmask_b32_e64 v4, 1, 0, s[60:61]                       // 000000005CC8: D1000004 00F10081
	v_and_b32_e32 v4, v4, v2                                   // 000000005CD0: 26080504
	v_bfe_u32 v5, v31, 23, 8                                   // 000000005CD4: D1C80005 02212F1F
	v_add_u32_e32 v5, v5, v4                                   // 000000005CDC: 680A0905
	v_cmp_u_f32_e64 s[60:61], v31, v31                         // 000000005CE0: D048003C 00023F1F
	v_lshlrev_b32_e32 v31, 23, v5                              // 000000005CE8: 243E0A97
	v_cndmask_b32_e64 v31, v31, v1, s[60:61]                   // 000000005CEC: D100001F 00F2031F
	v_mov_b32_e32 v5, 0x7fbfffff                               // 000000005CF4: 7E0A02FF 7FBFFFFF
	v_bfe_u32 v2, v32, 22, 1                                   // 000000005CFC: D1C80002 02052D20
	v_and_b32_e32 v3, v32, v5                                  // 000000005D04: 26060B20
	v_cmp_eq_u32_e64 s[60:61], v3, 0                           // 000000005D08: D0CA003C 00010103
	v_cndmask_b32_e64 v4, 1, 0, s[60:61]                       // 000000005D10: D1000004 00F10081
	v_and_b32_e32 v4, v4, v2                                   // 000000005D18: 26080504
	v_bfe_u32 v5, v32, 23, 8                                   // 000000005D1C: D1C80005 02212F20
	v_add_u32_e32 v5, v5, v4                                   // 000000005D24: 680A0905
	v_cmp_u_f32_e64 s[60:61], v32, v32                         // 000000005D28: D048003C 00024120
	v_lshlrev_b32_e32 v32, 23, v5                              // 000000005D30: 24400A97
	v_cndmask_b32_e64 v32, v32, v1, s[60:61]                   // 000000005D34: D1000020 00F20320
	s_mov_b32 s60, 0xffff                                      // 000000005D3C: BEBC00FF 0000FFFF
	v_cvt_scalef32_pk_fp4_f32 v44, v44, v45, v31               // 000000005D44: D23D002C 047E5B2C
	v_cvt_scalef32_pk_fp4_f32 v44, v46, v47, v31 op_sel:[0,0,1,0]// 000000005D4C: D23D202C 047E5F2E
	v_cvt_scalef32_pk_fp4_f32 v48, v48, v49, v31               // 000000005D54: D23D0030 047E6330
	v_cvt_scalef32_pk_fp4_f32 v48, v50, v51, v31 op_sel:[0,0,1,0]// 000000005D5C: D23D2030 047E6732
	s_nop 1                                                    // 000000005D64: BF800001
	v_permlane16_swap_b32_e32 v44, v48                         // 000000005D68: 7E58B330
	s_nop 1                                                    // 000000005D6C: BF800001
	v_and_b32_e64 v44, v44, s60                                // 000000005D70: D113002C 0000792C
	v_lshlrev_b32_e32 v48, 16, v48                             // 000000005D78: 24606090
	v_or_b32_e32 v44, v44, v48                                 // 000000005D7C: 2858612C
	v_mov_b32_e32 v48, v44                                     // 000000005D80: 7E60032C
	s_nop 1                                                    // 000000005D84: BF800001
	v_permlane32_swap_b32_e32 v44, v48                         // 000000005D88: 7E58B530
	s_nop 1                                                    // 000000005D8C: BF800001
	v_permlane16_swap_b32_e32 v44, v48                         // 000000005D90: 7E58B330
	s_nop 1                                                    // 000000005D94: BF800001
	v_permlane32_swap_b32_e32 v44, v48                         // 000000005D98: 7E58B530
	s_nop 1                                                    // 000000005D9C: BF800001
	v_cvt_scalef32_pk_fp4_f32 v60, v60, v61, v32               // 000000005DA0: D23D003C 04827B3C
	v_cvt_scalef32_pk_fp4_f32 v60, v62, v63, v32 op_sel:[0,0,1,0]// 000000005DA8: D23D203C 04827F3E
	v_cvt_scalef32_pk_fp4_f32 v64, v64, v65, v32               // 000000005DB0: D23D0040 04828340
	v_cvt_scalef32_pk_fp4_f32 v64, v66, v67, v32 op_sel:[0,0,1,0]// 000000005DB8: D23D2040 04828742
	s_nop 1                                                    // 000000005DC0: BF800001
	v_permlane16_swap_b32_e32 v60, v64                         // 000000005DC4: 7E78B340
	s_nop 1                                                    // 000000005DC8: BF800001
	v_and_b32_e64 v60, v60, s60                                // 000000005DCC: D113003C 0000793C
	v_lshlrev_b32_e32 v64, 16, v64                             // 000000005DD4: 24808090
	v_or_b32_e32 v60, v60, v64                                 // 000000005DD8: 2878813C
	v_mov_b32_e32 v64, v60                                     // 000000005DDC: 7E80033C
	s_nop 1                                                    // 000000005DE0: BF800001
	v_permlane32_swap_b32_e32 v60, v64                         // 000000005DE4: 7E78B540
	s_nop 1                                                    // 000000005DE8: BF800001
	v_permlane16_swap_b32_e32 v60, v64                         // 000000005DEC: 7E78B340
	s_nop 1                                                    // 000000005DF0: BF800001
	v_permlane32_swap_b32_e32 v60, v64                         // 000000005DF4: 7E78B540
	s_nop 1                                                    // 000000005DF8: BF800001
	v_mov_b32_e32 v33, 0x358637bd                              // 000000005DFC: 7E4202FF 358637BD
	v_mov_b32_e32 v34, 0x358637bd                              // 000000005E04: 7E4402FF 358637BD
	v_max3_f32 v33, |v52|, |v53|, v33                          // 000000005E0C: D1D30321 04866B34
	v_max3_f32 v33, |v54|, |v55|, v33                          // 000000005E14: D1D30321 04866F36
	v_max3_f32 v33, |v56|, |v57|, v33                          // 000000005E1C: D1D30321 04867338
	v_max3_f32 v33, |v58|, |v59|, v33                          // 000000005E24: D1D30321 0486773A
	v_max3_f32 v34, |v68|, |v69|, v34                          // 000000005E2C: D1D30322 048A8B44
	v_max3_f32 v34, |v70|, |v71|, v34                          // 000000005E34: D1D30322 048A8F46
	v_max3_f32 v34, |v72|, |v73|, v34                          // 000000005E3C: D1D30322 048A9348
	v_max3_f32 v34, |v74|, |v75|, v34                          // 000000005E44: D1D30322 048A974A
	v_mov_b32_e32 v2, v33                                      // 000000005E4C: 7E040321
	s_nop 1                                                    // 000000005E50: BF800001
	v_permlane32_swap_b32_e32 v2, v33                          // 000000005E54: 7E04B521
	v_max_f32_e32 v33, v2, v33                                 // 000000005E58: 16424302
	v_mov_b32_e32 v2, v33                                      // 000000005E5C: 7E040321
	s_nop 1                                                    // 000000005E60: BF800001
	v_permlane16_swap_b32_e32 v2, v33                          // 000000005E64: 7E04B321
	v_max_f32_e32 v33, v2, v33                                 // 000000005E68: 16424302
	v_mov_b32_e32 v2, v34                                      // 000000005E6C: 7E040322
	s_nop 1                                                    // 000000005E70: BF800001
	v_permlane32_swap_b32_e32 v2, v34                          // 000000005E74: 7E04B522
	v_max_f32_e32 v34, v2, v34                                 // 000000005E78: 16444502
	v_mov_b32_e32 v2, v34                                      // 000000005E7C: 7E040322
	s_nop 1                                                    // 000000005E80: BF800001
	v_permlane16_swap_b32_e32 v2, v34                          // 000000005E84: 7E04B322
	v_max_f32_e32 v34, v2, v34                                 // 000000005E88: 16444502
	v_mov_b32_e32 v2, 0x3e800000                               // 000000005E8C: 7E0402FF 3E800000
	v_mul_f32_e32 v33, v2, v33                                 // 000000005E94: 0A424302
	v_mul_f32_e32 v34, v2, v34                                 // 000000005E98: 0A444502
	v_mov_b32_e32 v1, 0x7fff0000                               // 000000005E9C: 7E0202FF 7FFF0000
	v_mov_b32_e32 v5, 0x7fbfffff                               // 000000005EA4: 7E0A02FF 7FBFFFFF
	v_bfe_u32 v2, v33, 22, 1                                   // 000000005EAC: D1C80002 02052D21
	v_and_b32_e32 v3, v33, v5                                  // 000000005EB4: 26060B21
	v_cmp_eq_u32_e64 s[60:61], v3, 0                           // 000000005EB8: D0CA003C 00010103
	v_cndmask_b32_e64 v4, 1, 0, s[60:61]                       // 000000005EC0: D1000004 00F10081
	v_and_b32_e32 v4, v4, v2                                   // 000000005EC8: 26080504
	v_bfe_u32 v5, v33, 23, 8                                   // 000000005ECC: D1C80005 02212F21
	v_add_u32_e32 v5, v5, v4                                   // 000000005ED4: 680A0905
	v_cmp_u_f32_e64 s[60:61], v33, v33                         // 000000005ED8: D048003C 00024321
	v_lshlrev_b32_e32 v33, 23, v5                              // 000000005EE0: 24420A97
	v_cndmask_b32_e64 v33, v33, v1, s[60:61]                   // 000000005EE4: D1000021 00F20321
	v_mov_b32_e32 v5, 0x7fbfffff                               // 000000005EEC: 7E0A02FF 7FBFFFFF
	v_bfe_u32 v2, v34, 22, 1                                   // 000000005EF4: D1C80002 02052D22
	v_and_b32_e32 v3, v34, v5                                  // 000000005EFC: 26060B22
	v_cmp_eq_u32_e64 s[60:61], v3, 0                           // 000000005F00: D0CA003C 00010103
	v_cndmask_b32_e64 v4, 1, 0, s[60:61]                       // 000000005F08: D1000004 00F10081
	v_and_b32_e32 v4, v4, v2                                   // 000000005F10: 26080504
	v_bfe_u32 v5, v34, 23, 8                                   // 000000005F14: D1C80005 02212F22
	v_add_u32_e32 v5, v5, v4                                   // 000000005F1C: 680A0905
	v_cmp_u_f32_e64 s[60:61], v34, v34                         // 000000005F20: D048003C 00024522
	v_lshlrev_b32_e32 v34, 23, v5                              // 000000005F28: 24440A97
	v_cndmask_b32_e64 v34, v34, v1, s[60:61]                   // 000000005F2C: D1000022 00F20322
	s_mov_b32 s60, 0xffff                                      // 000000005F34: BEBC00FF 0000FFFF
	v_cvt_scalef32_pk_fp4_f32 v52, v52, v53, v33               // 000000005F3C: D23D0034 04866B34
	v_cvt_scalef32_pk_fp4_f32 v52, v54, v55, v33 op_sel:[0,0,1,0]// 000000005F44: D23D2034 04866F36
	v_cvt_scalef32_pk_fp4_f32 v56, v56, v57, v33               // 000000005F4C: D23D0038 04867338
	v_cvt_scalef32_pk_fp4_f32 v56, v58, v59, v33 op_sel:[0,0,1,0]// 000000005F54: D23D2038 0486773A
	s_nop 1                                                    // 000000005F5C: BF800001
	v_permlane16_swap_b32_e32 v52, v56                         // 000000005F60: 7E68B338
	s_nop 1                                                    // 000000005F64: BF800001
	v_and_b32_e64 v52, v52, s60                                // 000000005F68: D1130034 00007934
	v_lshlrev_b32_e32 v56, 16, v56                             // 000000005F70: 24707090
	v_or_b32_e32 v52, v52, v56                                 // 000000005F74: 28687134
	v_mov_b32_e32 v56, v52                                     // 000000005F78: 7E700334
	s_nop 1                                                    // 000000005F7C: BF800001
	v_permlane32_swap_b32_e32 v52, v56                         // 000000005F80: 7E68B538
	s_nop 1                                                    // 000000005F84: BF800001
	v_permlane16_swap_b32_e32 v52, v56                         // 000000005F88: 7E68B338
	s_nop 1                                                    // 000000005F8C: BF800001
	v_permlane32_swap_b32_e32 v52, v56                         // 000000005F90: 7E68B538
	s_nop 1                                                    // 000000005F94: BF800001
	v_cvt_scalef32_pk_fp4_f32 v68, v68, v69, v34               // 000000005F98: D23D0044 048A8B44
	v_cvt_scalef32_pk_fp4_f32 v68, v70, v71, v34 op_sel:[0,0,1,0]// 000000005FA0: D23D2044 048A8F46
	v_cvt_scalef32_pk_fp4_f32 v72, v72, v73, v34               // 000000005FA8: D23D0048 048A9348
	v_cvt_scalef32_pk_fp4_f32 v72, v74, v75, v34 op_sel:[0,0,1,0]// 000000005FB0: D23D2048 048A974A
	s_nop 1                                                    // 000000005FB8: BF800001
	v_permlane16_swap_b32_e32 v68, v72                         // 000000005FBC: 7E88B348
	s_nop 1                                                    // 000000005FC0: BF800001
	v_and_b32_e64 v68, v68, s60                                // 000000005FC4: D1130044 00007944
	v_lshlrev_b32_e32 v72, 16, v72                             // 000000005FCC: 24909090
	v_or_b32_e32 v68, v68, v72                                 // 000000005FD0: 28889144
	v_mov_b32_e32 v72, v68                                     // 000000005FD4: 7E900344
	s_nop 1                                                    // 000000005FD8: BF800001
	v_permlane32_swap_b32_e32 v68, v72                         // 000000005FDC: 7E88B548
	s_nop 1                                                    // 000000005FE0: BF800001
	v_permlane16_swap_b32_e32 v68, v72                         // 000000005FE4: 7E88B348
	s_nop 1                                                    // 000000005FE8: BF800001
	v_permlane32_swap_b32_e32 v68, v72                         // 000000005FEC: 7E88B548
	s_nop 1                                                    // 000000005FF0: BF800001
	v_lshrrev_b32_e32 v2, 5, v0                                // 000000005FF4: 20040085
	v_lshlrev_b32_e32 v3, 6, v2                                // 000000005FF8: 24060486
	v_and_b32_e32 v2, 31, v0                                   // 000000005FFC: 2604009F
	v_lshrrev_b32_e32 v4, 4, v2                                // 000000006000: 20080484
	v_add_u32_e32 v3, v4, v3                                   // 000000006004: 68060704
	v_and_b32_e32 v2, 15, v0                                   // 000000006008: 2604008F
	v_lshlrev_b32_e32 v2, 1, v2                                // 00000000600C: 24040481
	v_add_u32_e32 v3, v2, v3                                   // 000000006010: 68060702
	v_lshlrev_b32_e32 v2, 2, v3                                // 000000006014: 24040682
	s_mov_b32 s60, 0                                           // 000000006018: BEBC0080
	s_lshr_b32 s61, s7, 1                                      // 00000000601C: 8F3D8107
	s_mul_i32 s61, s61, 0x200                                  // 000000006020: 923DFF3D 00000200
	s_add_u32 s60, s61, s60                                    // 000000006028: 803C3C3D
	s_and_b32 s61, s7, 1                                       // 00000000602C: 863D8107
	s_mul_i32 s61, s61, 0x80                                   // 000000006030: 923DFF3D 00000080
	s_add_u32 s60, s61, s60                                    // 000000006038: 803C3C3D
	v_add_u32_e64 v2, v2, s60                                  // 00000000603C: D1340002 00007902
	ds_write_b32 v2, v44                                       // 000000006044: D81A0000 00002C02
	ds_write_b32 v2, v52 offset:1024                           // 00000000604C: D81A0400 00003402
	ds_write_b32 v2, v60 offset:2048                           // 000000006054: D81A0800 00003C02
	ds_write_b32 v2, v68 offset:3072                           // 00000000605C: D81A0C00 00004402
	s_waitcnt lgkmcnt(0)                                       // 000000006064: BF8CC07F
	s_barrier                                                  // 000000006068: BF8A0000
	v_and_b32_e32 v2, 31, v0                                   // 00000000606C: 2604009F
	v_lshrrev_b32_e32 v2, 4, v2                                // 000000006070: 20040484
	v_lshlrev_b32_e32 v3, 5, v2                                // 000000006074: 24060485
	v_lshrrev_b32_e32 v2, 5, v0                                // 000000006078: 20040085
	v_lshlrev_b32_e32 v2, 7, v2                                // 00000000607C: 24040487
	v_add_u32_e32 v3, v2, v3                                   // 000000006080: 68060702
	v_and_b32_e32 v2, 15, v0                                   // 000000006084: 2604008F
	v_lshlrev_b32_e32 v2, 1, v2                                // 000000006088: 24040481
	v_add_u32_e32 v3, v2, v3                                   // 00000000608C: 68060702
	v_lshlrev_b32_e32 v2, 2, v3                                // 000000006090: 24040682
	ds_read_b64 v[44:45], v2                                   // 000000006094: D8EC0000 2C000002
	ds_read_b64 v[46:47], v2 offset:256                        // 00000000609C: D8EC0100 2E000002
	ds_read_b64 v[48:49], v2 offset:1024                       // 0000000060A4: D8EC0400 30000002
	ds_read_b64 v[50:51], v2 offset:1280                       // 0000000060AC: D8EC0500 32000002
	ds_read_b64 v[52:53], v2 offset:2048                       // 0000000060B4: D8EC0800 34000002
	ds_read_b64 v[54:55], v2 offset:2304                       // 0000000060BC: D8EC0900 36000002
	ds_read_b64 v[56:57], v2 offset:3072                       // 0000000060C4: D8EC0C00 38000002
	ds_read_b64 v[58:59], v2 offset:3328                       // 0000000060CC: D8EC0D00 3A000002
	s_waitcnt lgkmcnt(0)                                       // 0000000060D4: BF8CC07F
	s_barrier                                                  // 0000000060D8: BF8A0000
	v_lshrrev_b32_e32 v2, 5, v0                                // 0000000060DC: 20040085
	v_lshlrev_b32_e32 v3, 6, v2                                // 0000000060E0: 24060486
	v_and_b32_e32 v2, 31, v0                                   // 0000000060E4: 2604009F
	v_lshrrev_b32_e32 v4, 4, v2                                // 0000000060E8: 20080484
	v_add_u32_e32 v3, v4, v3                                   // 0000000060EC: 68060704
	v_and_b32_e32 v2, 15, v0                                   // 0000000060F0: 2604008F
	v_lshlrev_b32_e32 v2, 1, v2                                // 0000000060F4: 24040481
	v_add_u32_e32 v3, v2, v3                                   // 0000000060F8: 68060702
	v_lshlrev_b32_e32 v2, 2, v3                                // 0000000060FC: 24040682
	s_mov_b32 s60, 0                                           // 000000006100: BEBC0080
	s_lshr_b32 s61, s7, 1                                      // 000000006104: 8F3D8107
	s_mul_i32 s61, s61, 0x200                                  // 000000006108: 923DFF3D 00000200
	s_add_u32 s60, s61, s60                                    // 000000006110: 803C3C3D
	s_and_b32 s61, s7, 1                                       // 000000006114: 863D8107
	s_mul_i32 s61, s61, 0x80                                   // 000000006118: 923DFF3D 00000080
	s_add_u32 s60, s61, s60                                    // 000000006120: 803C3C3D
	v_add_u32_e64 v2, v2, s60                                  // 000000006124: D1340002 00007902
	ds_write_b32 v2, v31                                       // 00000000612C: D81A0000 00001F02
	ds_write_b32 v2, v33 offset:1024                           // 000000006134: D81A0400 00002102
	ds_write_b32 v2, v32 offset:2048                           // 00000000613C: D81A0800 00002002
	ds_write_b32 v2, v34 offset:3072                           // 000000006144: D81A0C00 00002202
	s_waitcnt lgkmcnt(0)                                       // 00000000614C: BF8CC07F
	s_barrier                                                  // 000000006150: BF8A0000
	v_and_b32_e32 v2, 31, v0                                   // 000000006154: 2604009F
	v_lshrrev_b32_e32 v2, 4, v2                                // 000000006158: 20040484
	v_lshlrev_b32_e32 v3, 5, v2                                // 00000000615C: 24060485
	v_lshrrev_b32_e32 v2, 5, v0                                // 000000006160: 20040085
	v_lshlrev_b32_e32 v2, 7, v2                                // 000000006164: 24040487
	v_add_u32_e32 v3, v2, v3                                   // 000000006168: 68060702
	v_and_b32_e32 v2, 15, v0                                   // 00000000616C: 2604008F
	v_lshlrev_b32_e32 v2, 1, v2                                // 000000006170: 24040481
	v_add_u32_e32 v3, v2, v3                                   // 000000006174: 68060702
	v_lshlrev_b32_e32 v2, 2, v3                                // 000000006178: 24040682
	ds_read_b32 v31, v2                                        // 00000000617C: D86C0000 1F000002
	ds_read_b32 v33, v2 offset:1024                            // 000000006184: D86C0400 21000002
	ds_read_b32 v32, v2 offset:2048                            // 00000000618C: D86C0800 20000002
	ds_read_b32 v34, v2 offset:3072                            // 000000006194: D86C0C00 22000002
	s_waitcnt lgkmcnt(0)                                       // 00000000619C: BF8CC07F
	s_barrier                                                  // 0000000061A0: BF8A0000
	v_bfe_u32 v31, v31, 23, 8                                  // 0000000061A4: D1C8001F 02212F1F
	v_bfe_u32 v32, v32, 23, 8                                  // 0000000061AC: D1C80020 02212F20
	v_bfe_u32 v33, v33, 23, 8                                  // 0000000061B4: D1C80021 02212F21
	v_bfe_u32 v34, v34, 23, 8                                  // 0000000061BC: D1C80022 02212F22
	v_mov_b32_e32 v2, 0                                        // 0000000061C4: 7E040280
	v_lshlrev_b32_e32 v31, 0, v31                              // 0000000061C8: 243E3E80
	v_or_b32_e32 v2, v2, v31                                   // 0000000061CC: 28043F02
	v_lshlrev_b32_e32 v32, 8, v32                              // 0000000061D0: 24404088
	v_or_b32_e32 v2, v2, v32                                   // 0000000061D4: 28044102
	v_lshlrev_b32_e32 v33, 16, v33                             // 0000000061D8: 24424290
	v_or_b32_e32 v2, v2, v33                                   // 0000000061DC: 28044302
	v_lshlrev_b32_e32 v34, 24, v34                             // 0000000061E0: 24444498
	v_or_b32_e32 v2, v2, v34                                   // 0000000061E4: 28044502
	v_mov_b32_e32 v31, v2                                      // 0000000061E8: 7E3E0302
	s_add_u32 s12, s56, s12                                    // 0000000061EC: 800C0C38
	s_addc_u32 s13, 0, s13                                     // 0000000061F0: 820D0D80
	s_add_u32 s16, s79, s16                                    // 0000000061F4: 8010104F
	s_addc_u32 s17, 0, s17                                     // 0000000061F8: 82111180
	s_waitcnt lgkmcnt(0)                                       // 0000000061FC: BF8CC07F
	s_barrier                                                  // 000000006200: BF8A0000
	v_mov_b32_e32 v108, 0                                      // 000000006204: 7ED80280
	v_mov_b32_e32 v140, 0                                      // 000000006208: 7F180280
	v_mov_b32_e32 v109, 0                                      // 00000000620C: 7EDA0280
	v_mov_b32_e32 v141, 0                                      // 000000006210: 7F1A0280
	v_mov_b32_e32 v110, 0                                      // 000000006214: 7EDC0280
	v_mov_b32_e32 v142, 0                                      // 000000006218: 7F1C0280
	v_mov_b32_e32 v111, 0                                      // 00000000621C: 7EDE0280
	v_mov_b32_e32 v143, 0                                      // 000000006220: 7F1E0280
	v_mov_b32_e32 v112, 0                                      // 000000006224: 7EE00280
	v_mov_b32_e32 v144, 0                                      // 000000006228: 7F200280
	v_mov_b32_e32 v113, 0                                      // 00000000622C: 7EE20280
	v_mov_b32_e32 v145, 0                                      // 000000006230: 7F220280
	v_mov_b32_e32 v114, 0                                      // 000000006234: 7EE40280
	v_mov_b32_e32 v146, 0                                      // 000000006238: 7F240280
	v_mov_b32_e32 v115, 0                                      // 00000000623C: 7EE60280
	v_mov_b32_e32 v147, 0                                      // 000000006240: 7F260280
	v_mov_b32_e32 v116, 0                                      // 000000006244: 7EE80280
	v_mov_b32_e32 v148, 0                                      // 000000006248: 7F280280
	v_mov_b32_e32 v117, 0                                      // 00000000624C: 7EEA0280
	v_mov_b32_e32 v149, 0                                      // 000000006250: 7F2A0280
	v_mov_b32_e32 v118, 0                                      // 000000006254: 7EEC0280
	v_mov_b32_e32 v150, 0                                      // 000000006258: 7F2C0280
	v_mov_b32_e32 v119, 0                                      // 00000000625C: 7EEE0280
	v_mov_b32_e32 v151, 0                                      // 000000006260: 7F2E0280
	v_mov_b32_e32 v120, 0                                      // 000000006264: 7EF00280
	v_mov_b32_e32 v152, 0                                      // 000000006268: 7F300280
	v_mov_b32_e32 v121, 0                                      // 00000000626C: 7EF20280
	v_mov_b32_e32 v153, 0                                      // 000000006270: 7F320280
	v_mov_b32_e32 v122, 0                                      // 000000006274: 7EF40280
	v_mov_b32_e32 v154, 0                                      // 000000006278: 7F340280
	v_mov_b32_e32 v123, 0                                      // 00000000627C: 7EF60280
	v_mov_b32_e32 v155, 0                                      // 000000006280: 7F360280
	ds_write_b64 v8, v[108:109]                                // 000000006284: D89A0000 00006C08
	ds_write_b64 v8, v[110:111] offset:8704                    // 00000000628C: D89A2200 00006E08
	ds_write_b64 v8, v[112:113] offset:544                     // 000000006294: D89A0220 00007008
	ds_write_b64 v8, v[114:115] offset:9248                    // 00000000629C: D89A2420 00007208
	ds_write_b64 v8, v[116:117] offset:4352                    // 0000000062A4: D89A1100 00007408
	ds_write_b64 v8, v[118:119] offset:13056                   // 0000000062AC: D89A3300 00007608
	ds_write_b64 v8, v[120:121] offset:4896                    // 0000000062B4: D89A1320 00007808
	ds_write_b64 v8, v[122:123] offset:13600                   // 0000000062BC: D89A3520 00007A08
	s_mov_b32 s80, 0                                           // 0000000062C4: BED00080
	s_waitcnt vmcnt(0) expcnt(0) lgkmcnt(0)                    // 0000000062C8: BF8C0000

00000000000062cc <label_0DF3>:
	s_waitcnt vmcnt(6) lgkmcnt(0)                              // 0000000062CC: BF8C0076
	s_barrier                                                  // 0000000062D0: BF8A0000
	v_mfma_scale_f32_16x16x128_f8f6f4 v[108:111], a[0:3], v[44:47], 0, v21, v31 op_sel_hi:[0,0,0] cbsz:4 blgp:4// 0000000062D4: D3AC6000 00023F15 D3AD0C6C 8A025900
	buffer_load_dwordx4 a[32:35], v40, s[12:15], 0 offen       // 0000000062E4: E05C1000 80832028
	v_mfma_scale_f32_16x16x128_f8f6f4 v[112:115], a[0:3], v[52:55], 0, v21, v31 op_sel_hi:[0,0,0] cbsz:4 blgp:4// 0000000062EC: D3AC7000 00023F15 D3AD0C70 8A026900
	ds_read_b32 v76, v9                                        // 0000000062FC: D86C0000 4C000009
	ds_read_b32 v77, v9 offset:4352                            // 000000006304: D86C1100 4D000009
	ds_read_b32 v78, v9 offset:8                               // 00000000630C: D86C0008 4E000009
	ds_read_b32 v79, v9 offset:4360                            // 000000006314: D86C1108 4F000009
	v_mfma_scale_f32_16x16x128_f8f6f4 v[116:119], a[4:7], v[44:47], 0, v21, v31 op_sel_hi:[0,0,0] cbsz:4 blgp:4// 00000000631C: D3AC6800 00023F15 D3AD0C74 8A025904
	buffer_load_dwordx4 a[36:39], v41, s[12:15], 0 offen       // 00000000632C: E05C1000 80832429
	buffer_load_dword v23, v10, s[16:19], 0 offen              // 000000006334: E0501000 8004170A
	buffer_load_dword v24, v11, s[16:19], 0 offen              // 00000000633C: E0501000 8004180B
	v_mfma_scale_f32_16x16x128_f8f6f4 v[120:123], a[4:7], v[52:55], 0, v21, v31 op_sel_hi:[0,0,0] cbsz:4 blgp:4// 000000006344: D3AC7800 00023F15 D3AD0C78 8A026904
	ds_read_b32 v80, v9 offset:32                              // 000000006354: D86C0020 50000009
	ds_read_b32 v81, v9 offset:4384                            // 00000000635C: D86C1120 51000009
	ds_read_b32 v82, v9 offset:40                              // 000000006364: D86C0028 52000009
	ds_read_b32 v83, v9 offset:4392                            // 00000000636C: D86C1128 53000009
	s_waitcnt vmcnt(8)                                         // 000000006374: BF8C0F78
	v_mfma_scale_f32_16x16x128_f8f6f4 v[124:127], a[8:11], v[44:47], 0, v22, v31 op_sel_hi:[0,0,0] cbsz:4 blgp:4// 000000006378: D3AC6000 00023F16 D3AD0C7C 8A025908
	buffer_load_dwordx4 a[40:43], v42, s[12:15], 0 offen       // 000000006388: E05C1000 8083282A
	v_mfma_scale_f32_16x16x128_f8f6f4 v[128:131], a[8:11], v[52:55], 0, v22, v31 op_sel_hi:[0,0,0] cbsz:4 blgp:4// 000000006390: D3AC7000 00023F16 D3AD0C80 8A026908
	ds_read_b32 v84, v9 offset:8704                            // 0000000063A0: D86C2200 54000009
	ds_read_b32 v85, v9 offset:13056                           // 0000000063A8: D86C3300 55000009
	ds_read_b32 v86, v9 offset:8712                            // 0000000063B0: D86C2208 56000009
	ds_read_b32 v87, v9 offset:13064                           // 0000000063B8: D86C3308 57000009
	v_mfma_scale_f32_16x16x128_f8f6f4 v[132:135], a[12:15], v[44:47], 0, v22, v31 op_sel_hi:[0,0,0] cbsz:4 blgp:4// 0000000063C0: D3AC6800 00023F16 D3AD0C84 8A02590C
	buffer_load_dwordx4 a[44:47], v43, s[12:15], 0 offen       // 0000000063D0: E05C1000 80832C2B
	v_mfma_scale_f32_16x16x128_f8f6f4 v[136:139], a[12:15], v[52:55], 0, v22, v31 op_sel_hi:[0,0,0] cbsz:4 blgp:4// 0000000063D8: D3AC7800 00023F16 D3AD0C88 8A02690C
	ds_read_b32 v88, v9 offset:8736                            // 0000000063E8: D86C2220 58000009
	ds_read_b32 v89, v9 offset:13088                           // 0000000063F0: D86C3320 59000009
	ds_read_b32 v90, v9 offset:8744                            // 0000000063F8: D86C2228 5A000009
	ds_read_b32 v91, v9 offset:13096                           // 000000006400: D86C3328 5B000009
	s_waitcnt vmcnt(8)                                         // 000000006408: BF8C0F78
	v_mfma_scale_f32_16x16x128_f8f6f4 v[108:111], a[16:19], v[48:51], v[108:111], v21, v31 op_sel_hi:[0,0,0] cbsz:4 blgp:4// 00000000640C: D3AC6000 18023F15 D3AD0C6C 8DB26110
	buffer_load_dwordx4 a[48:51], v40, s[12:15], 0 offen offset:1024// 00000000641C: E05C1400 80833028
	v_mfma_scale_f32_16x16x128_f8f6f4 v[112:115], a[16:19], v[56:59], v[112:115], v21, v31 op_sel_hi:[0,0,0] cbsz:4 blgp:4// 000000006424: D3AC7000 18023F15 D3AD0C70 8DC27110
	ds_write_b64 v8, v[140:141] offset:17408                   // 000000006434: D89A4400 00008C08
	ds_write_b64 v8, v[142:143] offset:26112                   // 00000000643C: D89A6600 00008E08
	v_mfma_scale_f32_16x16x128_f8f6f4 v[116:119], a[20:23], v[48:51], v[116:119], v21, v31 op_sel_hi:[0,0,0] cbsz:4 blgp:4// 000000006444: D3AC6800 18023F15 D3AD0C74 8DD26114
	buffer_load_dwordx4 a[52:55], v41, s[12:15], 0 offen offset:1024// 000000006454: E05C1400 80833429
	v_mfma_scale_f32_16x16x128_f8f6f4 v[120:123], a[20:23], v[56:59], v[120:123], v21, v31 op_sel_hi:[0,0,0] cbsz:4 blgp:4// 00000000645C: D3AC7800 18023F15 D3AD0C78 8DE27114
	ds_write_b64 v8, v[144:145] offset:17952                   // 00000000646C: D89A4620 00009008
	ds_write_b64 v8, v[146:147] offset:26656                   // 000000006474: D89A6820 00009208
	s_waitcnt vmcnt(8)                                         // 00000000647C: BF8C0F78
	v_mfma_scale_f32_16x16x128_f8f6f4 v[124:127], a[24:27], v[48:51], v[124:127], v22, v31 op_sel_hi:[0,0,0] cbsz:4 blgp:4// 000000006480: D3AC6000 18023F16 D3AD0C7C 8DF26118
	buffer_load_dwordx4 a[56:59], v42, s[12:15], 0 offen offset:1024// 000000006490: E05C1400 8083382A
	v_mfma_scale_f32_16x16x128_f8f6f4 v[128:131], a[24:27], v[56:59], v[128:131], v22, v31 op_sel_hi:[0,0,0] cbsz:4 blgp:4// 000000006498: D3AC7000 18023F16 D3AD0C80 8E027118
	ds_write_b64 v8, v[148:149] offset:21760                   // 0000000064A8: D89A5500 00009408
	ds_write_b64 v8, v[150:151] offset:30464                   // 0000000064B0: D89A7700 00009608
	v_mfma_scale_f32_16x16x128_f8f6f4 v[132:135], a[28:31], v[48:51], v[132:135], v22, v31 op_sel_hi:[0,0,0] cbsz:4 blgp:4// 0000000064B8: D3AC6800 18023F16 D3AD0C84 8E12611C
	buffer_load_dwordx4 a[60:63], v43, s[12:15], 0 offen offset:1024// 0000000064C8: E05C1400 80833C2B
	v_mfma_scale_f32_16x16x128_f8f6f4 v[136:139], a[28:31], v[56:59], v[136:139], v22, v31 op_sel_hi:[0,0,0] cbsz:4 blgp:4// 0000000064D0: D3AC7800 18023F16 D3AD0C88 8E22711C
	ds_write_b64 v8, v[152:153] offset:22304                   // 0000000064E0: D89A5720 00009808
	ds_write_b64 v8, v[154:155] offset:31008                   // 0000000064E8: D89A7920 00009A08
	s_add_u32 s60, 0x200, s80                                  // 0000000064F0: 803C50FF 00000200
	s_cmp_lt_u32 s60, s81                                      // 0000000064F8: BF0A513C
	s_cselect_b32 s56, s56, 0                                  // 0000000064FC: 85388038
	s_cselect_b32 s78, s78, 0                                  // 000000006500: 854E804E
	s_cselect_b32 s79, s79, 0                                  // 000000006504: 854F804F
	s_add_u32 s12, s56, s12                                    // 000000006508: 800C0C38
	s_addc_u32 s13, 0, s13                                     // 00000000650C: 820D0D80
	s_add_u32 s16, s79, s16                                    // 000000006510: 8010104F
	s_addc_u32 s17, 0, s17                                     // 000000006514: 82111180
	v_mov_b32_e32 v2, v29                                      // 000000006518: 7E04031D
	v_mov_b32_e32 v3, v29                                      // 00000000651C: 7E06031D
	v_pk_mul_f32 v[108:109], v[2:3], v[108:109]                // 000000006520: D3B1406C 1802D902
	v_pk_mul_f32 v[110:111], v[2:3], v[110:111]                // 000000006528: D3B1406E 1802DD02
	v_pk_mul_f32 v[116:117], v[2:3], v[116:117]                // 000000006530: D3B14074 1802E902
	v_pk_mul_f32 v[118:119], v[2:3], v[118:119]                // 000000006538: D3B14076 1802ED02
	v_pk_mul_f32 v[124:125], v[2:3], v[124:125]                // 000000006540: D3B1407C 1802F902
	v_pk_mul_f32 v[126:127], v[2:3], v[126:127]                // 000000006548: D3B1407E 1802FD02
	v_pk_mul_f32 v[132:133], v[2:3], v[132:133]                // 000000006550: D3B14084 18030902
	v_pk_mul_f32 v[134:135], v[2:3], v[134:135]                // 000000006558: D3B14086 18030D02
	v_mov_b32_e32 v2, v30                                      // 000000006560: 7E04031E
	v_mov_b32_e32 v3, v30                                      // 000000006564: 7E06031E
	v_pk_mul_f32 v[112:113], v[2:3], v[112:113]                // 000000006568: D3B14070 1802E102
	v_pk_mul_f32 v[114:115], v[2:3], v[114:115]                // 000000006570: D3B14072 1802E502
	v_pk_mul_f32 v[120:121], v[2:3], v[120:121]                // 000000006578: D3B14078 1802F102
	v_pk_mul_f32 v[122:123], v[2:3], v[122:123]                // 000000006580: D3B1407A 1802F502
	v_pk_mul_f32 v[128:129], v[2:3], v[128:129]                // 000000006588: D3B14080 18030102
	v_pk_mul_f32 v[130:131], v[2:3], v[130:131]                // 000000006590: D3B14082 18030502
	v_pk_mul_f32 v[136:137], v[2:3], v[136:137]                // 000000006598: D3B14088 18031102
	v_pk_mul_f32 v[138:139], v[2:3], v[138:139]                // 0000000065A0: D3B1408A 18031502
	v_cvt_pk_bf16_f32 v108, v108, v109                         // 0000000065A8: D268006C 0002DB6C
	v_cvt_pk_bf16_f32 v109, v110, v111                         // 0000000065B0: D268006D 0002DF6E
	v_cvt_pk_bf16_f32 v110, v112, v113                         // 0000000065B8: D268006E 0002E370
	v_cvt_pk_bf16_f32 v111, v114, v115                         // 0000000065C0: D268006F 0002E772
	v_cvt_pk_bf16_f32 v112, v116, v117                         // 0000000065C8: D2680070 0002EB74
	v_cvt_pk_bf16_f32 v113, v118, v119                         // 0000000065D0: D2680071 0002EF76
	v_cvt_pk_bf16_f32 v114, v120, v121                         // 0000000065D8: D2680072 0002F378
	v_cvt_pk_bf16_f32 v115, v122, v123                         // 0000000065E0: D2680073 0002F77A
	v_cvt_pk_bf16_f32 v116, v124, v125                         // 0000000065E8: D2680074 0002FB7C
	v_cvt_pk_bf16_f32 v117, v126, v127                         // 0000000065F0: D2680075 0002FF7E
	v_cvt_pk_bf16_f32 v118, v128, v129                         // 0000000065F8: D2680076 00030380
	v_cvt_pk_bf16_f32 v119, v130, v131                         // 000000006600: D2680077 00030782
	v_cvt_pk_bf16_f32 v120, v132, v133                         // 000000006608: D2680078 00030B84
	v_cvt_pk_bf16_f32 v121, v134, v135                         // 000000006610: D2680079 00030F86
	v_cvt_pk_bf16_f32 v122, v136, v137                         // 000000006618: D268007A 00031388
	v_cvt_pk_bf16_f32 v123, v138, v139                         // 000000006620: D268007B 0003178A
	s_cmp_ge_u32 s80, 0x200                                    // 000000006628: BF09FF50 00000200
	s_cselect_b32 s59, 0x200, s59                              // 000000006630: 853B3BFF 00000200
	s_setvskip s20, 0                                          // 000000006638: BF108014
	global_atomic_pk_add_bf16 v92, v76, s[8:9]                 // 00000000663C: DD488000 00084C5C
	s_setvskip 0, 0                                            // 000000006644: BF108080
	s_setvskip s20, 0                                          // 000000006648: BF108014
	global_atomic_pk_add_bf16 v92, v77, s[8:9] offset:256      // 00000000664C: DD488100 00084D5C
	s_setvskip 0, 0                                            // 000000006654: BF108080
	s_setvskip s20, 1                                          // 000000006658: BF108114
	global_atomic_pk_add_bf16 v94, v78, s[8:9]                 // 00000000665C: DD488000 00084E5E
	s_setvskip 0, 0                                            // 000000006664: BF108080
	s_setvskip s20, 1                                          // 000000006668: BF108114
	global_atomic_pk_add_bf16 v94, v79, s[8:9] offset:256      // 00000000666C: DD488100 00084F5E
	s_setvskip 0, 0                                            // 000000006674: BF108080
	s_setvskip s20, 2                                          // 000000006678: BF108214
	global_atomic_pk_add_bf16 v96, v80, s[8:9]                 // 00000000667C: DD488000 00085060
	s_setvskip 0, 0                                            // 000000006684: BF108080
	s_setvskip s20, 2                                          // 000000006688: BF108214
	global_atomic_pk_add_bf16 v96, v81, s[8:9] offset:256      // 00000000668C: DD488100 00085160
	s_setvskip 0, 0                                            // 000000006694: BF108080
	s_setvskip s20, 3                                          // 000000006698: BF108314
	global_atomic_pk_add_bf16 v98, v82, s[8:9]                 // 00000000669C: DD488000 00085262
	s_setvskip 0, 0                                            // 0000000066A4: BF108080
	s_setvskip s20, 3                                          // 0000000066A8: BF108314
	global_atomic_pk_add_bf16 v98, v83, s[8:9] offset:256      // 0000000066AC: DD488100 00085362
	s_setvskip 0, 0                                            // 0000000066B4: BF108080
	s_setvskip s20, 4                                          // 0000000066B8: BF108414
	global_atomic_pk_add_bf16 v100, v84, s[8:9]                // 0000000066BC: DD488000 00085464
	s_setvskip 0, 0                                            // 0000000066C4: BF108080
	s_setvskip s20, 4                                          // 0000000066C8: BF108414
	global_atomic_pk_add_bf16 v100, v85, s[8:9] offset:256     // 0000000066CC: DD488100 00085564
	s_setvskip 0, 0                                            // 0000000066D4: BF108080
	s_setvskip s20, 5                                          // 0000000066D8: BF108514
	global_atomic_pk_add_bf16 v102, v86, s[8:9]                // 0000000066DC: DD488000 00085666
	s_setvskip 0, 0                                            // 0000000066E4: BF108080
	s_setvskip s20, 5                                          // 0000000066E8: BF108514
	global_atomic_pk_add_bf16 v102, v87, s[8:9] offset:256     // 0000000066EC: DD488100 00085766
	s_setvskip 0, 0                                            // 0000000066F4: BF108080
	s_setvskip s20, 6                                          // 0000000066F8: BF108614
	global_atomic_pk_add_bf16 v104, v88, s[8:9]                // 0000000066FC: DD488000 00085868
	s_setvskip 0, 0                                            // 000000006704: BF108080
	s_setvskip s20, 6                                          // 000000006708: BF108614
	global_atomic_pk_add_bf16 v104, v89, s[8:9] offset:256     // 00000000670C: DD488100 00085968
	s_setvskip 0, 0                                            // 000000006714: BF108080
	s_setvskip s20, 7                                          // 000000006718: BF108714
	global_atomic_pk_add_bf16 v106, v90, s[8:9]                // 00000000671C: DD488000 00085A6A
	s_setvskip 0, 0                                            // 000000006724: BF108080
	s_setvskip s20, 7                                          // 000000006728: BF108714
	global_atomic_pk_add_bf16 v106, v91, s[8:9] offset:256     // 00000000672C: DD488100 00085B6A
	s_setvskip 0, 0                                            // 000000006734: BF108080
	s_add_u32 s8, s59, s8                                      // 000000006738: 8008083B
	s_addc_u32 s9, 0, s9                                       // 00000000673C: 82090980
	s_addk_i32 s80, 0x100                                      // 000000006740: B7500100
	s_cmp_lt_i32 s80, s81                                      // 000000006744: BF045150
	s_cbranch_scc0 label_0931                                  // 000000006748: BF84FA1E
	s_waitcnt vmcnt(6) lgkmcnt(0)                              // 00000000674C: BF8C0076
	s_barrier                                                  // 000000006750: BF8A0000
	v_mfma_scale_f32_16x16x128_f8f6f4 v[140:143], a[32:35], v[44:47], 0, v23, v31 op_sel_hi:[0,0,0] cbsz:4 blgp:4// 000000006754: D3AC6000 00023F17 D3AD0C8C 8A025920
	buffer_load_dwordx4 a[0:3], v40, s[12:15], 0 offen         // 000000006764: E05C1000 80830028
	v_mfma_scale_f32_16x16x128_f8f6f4 v[144:147], a[32:35], v[52:55], 0, v23, v31 op_sel_hi:[0,0,0] cbsz:4 blgp:4// 00000000676C: D3AC7000 00023F17 D3AD0C90 8A026920
	ds_read_b32 v76, v9 offset:17408                           // 00000000677C: D86C4400 4C000009
	ds_read_b32 v77, v9 offset:21760                           // 000000006784: D86C5500 4D000009
	ds_read_b32 v78, v9 offset:17416                           // 00000000678C: D86C4408 4E000009
	ds_read_b32 v79, v9 offset:21768                           // 000000006794: D86C5508 4F000009
	v_mfma_scale_f32_16x16x128_f8f6f4 v[148:151], a[36:39], v[44:47], 0, v23, v31 op_sel_hi:[0,0,0] cbsz:4 blgp:4// 00000000679C: D3AC6800 00023F17 D3AD0C94 8A025924
	buffer_load_dwordx4 a[4:7], v41, s[12:15], 0 offen         // 0000000067AC: E05C1000 80830429
	buffer_load_dword v21, v10, s[16:19], 0 offen              // 0000000067B4: E0501000 8004150A
	buffer_load_dword v22, v11, s[16:19], 0 offen              // 0000000067BC: E0501000 8004160B
	v_mfma_scale_f32_16x16x128_f8f6f4 v[152:155], a[36:39], v[52:55], 0, v23, v31 op_sel_hi:[0,0,0] cbsz:4 blgp:4// 0000000067C4: D3AC7800 00023F17 D3AD0C98 8A026924
	ds_read_b32 v80, v9 offset:17440                           // 0000000067D4: D86C4420 50000009
	ds_read_b32 v81, v9 offset:21792                           // 0000000067DC: D86C5520 51000009
	ds_read_b32 v82, v9 offset:17448                           // 0000000067E4: D86C4428 52000009
	ds_read_b32 v83, v9 offset:21800                           // 0000000067EC: D86C5528 53000009
	s_waitcnt vmcnt(8)                                         // 0000000067F4: BF8C0F78
	v_mfma_scale_f32_16x16x128_f8f6f4 v[156:159], a[40:43], v[44:47], 0, v24, v31 op_sel_hi:[0,0,0] cbsz:4 blgp:4// 0000000067F8: D3AC6000 00023F18 D3AD0C9C 8A025928
	buffer_load_dwordx4 a[8:11], v42, s[12:15], 0 offen        // 000000006808: E05C1000 8083082A
	v_mfma_scale_f32_16x16x128_f8f6f4 v[160:163], a[40:43], v[52:55], 0, v24, v31 op_sel_hi:[0,0,0] cbsz:4 blgp:4// 000000006810: D3AC7000 00023F18 D3AD0CA0 8A026928
	ds_read_b32 v84, v9 offset:26112                           // 000000006820: D86C6600 54000009
	ds_read_b32 v85, v9 offset:30464                           // 000000006828: D86C7700 55000009
	ds_read_b32 v86, v9 offset:26120                           // 000000006830: D86C6608 56000009
	ds_read_b32 v87, v9 offset:30472                           // 000000006838: D86C7708 57000009
	v_mfma_scale_f32_16x16x128_f8f6f4 v[164:167], a[44:47], v[44:47], 0, v24, v31 op_sel_hi:[0,0,0] cbsz:4 blgp:4// 000000006840: D3AC6800 00023F18 D3AD0CA4 8A02592C
	buffer_load_dwordx4 a[12:15], v43, s[12:15], 0 offen       // 000000006850: E05C1000 80830C2B
	v_mfma_scale_f32_16x16x128_f8f6f4 v[168:171], a[44:47], v[52:55], 0, v24, v31 op_sel_hi:[0,0,0] cbsz:4 blgp:4// 000000006858: D3AC7800 00023F18 D3AD0CA8 8A02692C
	ds_read_b32 v88, v9 offset:26144                           // 000000006868: D86C6620 58000009
	ds_read_b32 v89, v9 offset:30496                           // 000000006870: D86C7720 59000009
	ds_read_b32 v90, v9 offset:26152                           // 000000006878: D86C6628 5A000009
	ds_read_b32 v91, v9 offset:30504                           // 000000006880: D86C7728 5B000009
	s_waitcnt vmcnt(8)                                         // 000000006888: BF8C0F78
	v_mfma_scale_f32_16x16x128_f8f6f4 v[140:143], a[48:51], v[48:51], v[140:143], v23, v31 op_sel_hi:[0,0,0] cbsz:4 blgp:4// 00000000688C: D3AC6000 18023F17 D3AD0C8C 8E326130
	buffer_load_dwordx4 a[16:19], v40, s[12:15], 0 offen offset:1024// 00000000689C: E05C1400 80831028
	v_mfma_scale_f32_16x16x128_f8f6f4 v[144:147], a[48:51], v[56:59], v[144:147], v23, v31 op_sel_hi:[0,0,0] cbsz:4 blgp:4// 0000000068A4: D3AC7000 18023F17 D3AD0C90 8E427130
	ds_write_b64 v8, v[108:109]                                // 0000000068B4: D89A0000 00006C08
	ds_write_b64 v8, v[110:111] offset:8704                    // 0000000068BC: D89A2200 00006E08
	v_mfma_scale_f32_16x16x128_f8f6f4 v[148:151], a[52:55], v[48:51], v[148:151], v23, v31 op_sel_hi:[0,0,0] cbsz:4 blgp:4// 0000000068C4: D3AC6800 18023F17 D3AD0C94 8E526134
	buffer_load_dwordx4 a[20:23], v41, s[12:15], 0 offen offset:1024// 0000000068D4: E05C1400 80831429
	v_mfma_scale_f32_16x16x128_f8f6f4 v[152:155], a[52:55], v[56:59], v[152:155], v23, v31 op_sel_hi:[0,0,0] cbsz:4 blgp:4// 0000000068DC: D3AC7800 18023F17 D3AD0C98 8E627134
	ds_write_b64 v8, v[112:113] offset:544                     // 0000000068EC: D89A0220 00007008
	ds_write_b64 v8, v[114:115] offset:9248                    // 0000000068F4: D89A2420 00007208
	s_waitcnt vmcnt(8)                                         // 0000000068FC: BF8C0F78
	v_mfma_scale_f32_16x16x128_f8f6f4 v[156:159], a[56:59], v[48:51], v[156:159], v24, v31 op_sel_hi:[0,0,0] cbsz:4 blgp:4// 000000006900: D3AC6000 18023F18 D3AD0C9C 8E726138
	buffer_load_dwordx4 a[24:27], v42, s[12:15], 0 offen offset:1024// 000000006910: E05C1400 8083182A
	v_mfma_scale_f32_16x16x128_f8f6f4 v[160:163], a[56:59], v[56:59], v[160:163], v24, v31 op_sel_hi:[0,0,0] cbsz:4 blgp:4// 000000006918: D3AC7000 18023F18 D3AD0CA0 8E827138
	ds_write_b64 v8, v[116:117] offset:4352                    // 000000006928: D89A1100 00007408
	ds_write_b64 v8, v[118:119] offset:13056                   // 000000006930: D89A3300 00007608
	v_mfma_scale_f32_16x16x128_f8f6f4 v[164:167], a[60:63], v[48:51], v[164:167], v24, v31 op_sel_hi:[0,0,0] cbsz:4 blgp:4// 000000006938: D3AC6800 18023F18 D3AD0CA4 8E92613C
	buffer_load_dwordx4 a[28:31], v43, s[12:15], 0 offen offset:1024// 000000006948: E05C1400 80831C2B
	v_mfma_scale_f32_16x16x128_f8f6f4 v[168:171], a[60:63], v[56:59], v[168:171], v24, v31 op_sel_hi:[0,0,0] cbsz:4 blgp:4// 000000006950: D3AC7800 18023F18 D3AD0CA8 8EA2713C
	ds_write_b64 v8, v[120:121] offset:4896                    // 000000006960: D89A1320 00007808
	ds_write_b64 v8, v[122:123] offset:13600                   // 000000006968: D89A3520 00007A08
	s_add_u32 s60, 0x200, s80                                  // 000000006970: 803C50FF 00000200
	s_cmp_lt_u32 s60, s81                                      // 000000006978: BF0A513C
	s_cselect_b32 s56, s56, 0                                  // 00000000697C: 85388038
	s_cselect_b32 s78, s78, 0                                  // 000000006980: 854E804E
	s_cselect_b32 s79, s79, 0                                  // 000000006984: 854F804F
	s_add_u32 s12, s56, s12                                    // 000000006988: 800C0C38
	s_addc_u32 s13, 0, s13                                     // 00000000698C: 820D0D80
	s_add_u32 s16, s79, s16                                    // 000000006990: 8010104F
	s_addc_u32 s17, 0, s17                                     // 000000006994: 82111180
	v_mov_b32_e32 v2, v29                                      // 000000006998: 7E04031D
	v_mov_b32_e32 v3, v29                                      // 00000000699C: 7E06031D
	v_pk_mul_f32 v[140:141], v[2:3], v[140:141]                // 0000000069A0: D3B1408C 18031902
	v_pk_mul_f32 v[142:143], v[2:3], v[142:143]                // 0000000069A8: D3B1408E 18031D02
	v_pk_mul_f32 v[148:149], v[2:3], v[148:149]                // 0000000069B0: D3B14094 18032902
	v_pk_mul_f32 v[150:151], v[2:3], v[150:151]                // 0000000069B8: D3B14096 18032D02
	v_pk_mul_f32 v[156:157], v[2:3], v[156:157]                // 0000000069C0: D3B1409C 18033902
	v_pk_mul_f32 v[158:159], v[2:3], v[158:159]                // 0000000069C8: D3B1409E 18033D02
	v_pk_mul_f32 v[164:165], v[2:3], v[164:165]                // 0000000069D0: D3B140A4 18034902
	v_pk_mul_f32 v[166:167], v[2:3], v[166:167]                // 0000000069D8: D3B140A6 18034D02
	v_mov_b32_e32 v2, v30                                      // 0000000069E0: 7E04031E
	v_mov_b32_e32 v3, v30                                      // 0000000069E4: 7E06031E
	v_pk_mul_f32 v[144:145], v[2:3], v[144:145]                // 0000000069E8: D3B14090 18032102
	v_pk_mul_f32 v[146:147], v[2:3], v[146:147]                // 0000000069F0: D3B14092 18032502
	v_pk_mul_f32 v[152:153], v[2:3], v[152:153]                // 0000000069F8: D3B14098 18033102
	v_pk_mul_f32 v[154:155], v[2:3], v[154:155]                // 000000006A00: D3B1409A 18033502
	v_pk_mul_f32 v[160:161], v[2:3], v[160:161]                // 000000006A08: D3B140A0 18034102
	v_pk_mul_f32 v[162:163], v[2:3], v[162:163]                // 000000006A10: D3B140A2 18034502
	v_pk_mul_f32 v[168:169], v[2:3], v[168:169]                // 000000006A18: D3B140A8 18035102
	v_pk_mul_f32 v[170:171], v[2:3], v[170:171]                // 000000006A20: D3B140AA 18035502
	v_cvt_pk_bf16_f32 v140, v140, v141                         // 000000006A28: D268008C 00031B8C
	v_cvt_pk_bf16_f32 v141, v142, v143                         // 000000006A30: D268008D 00031F8E
	v_cvt_pk_bf16_f32 v142, v144, v145                         // 000000006A38: D268008E 00032390
	v_cvt_pk_bf16_f32 v143, v146, v147                         // 000000006A40: D268008F 00032792
	v_cvt_pk_bf16_f32 v144, v148, v149                         // 000000006A48: D2680090 00032B94
	v_cvt_pk_bf16_f32 v145, v150, v151                         // 000000006A50: D2680091 00032F96
	v_cvt_pk_bf16_f32 v146, v152, v153                         // 000000006A58: D2680092 00033398
	v_cvt_pk_bf16_f32 v147, v154, v155                         // 000000006A60: D2680093 0003379A
	v_cvt_pk_bf16_f32 v148, v156, v157                         // 000000006A68: D2680094 00033B9C
	v_cvt_pk_bf16_f32 v149, v158, v159                         // 000000006A70: D2680095 00033F9E
	v_cvt_pk_bf16_f32 v150, v160, v161                         // 000000006A78: D2680096 000343A0
	v_cvt_pk_bf16_f32 v151, v162, v163                         // 000000006A80: D2680097 000347A2
	v_cvt_pk_bf16_f32 v152, v164, v165                         // 000000006A88: D2680098 00034BA4
	v_cvt_pk_bf16_f32 v153, v166, v167                         // 000000006A90: D2680099 00034FA6
	v_cvt_pk_bf16_f32 v154, v168, v169                         // 000000006A98: D268009A 000353A8
	v_cvt_pk_bf16_f32 v155, v170, v171                         // 000000006AA0: D268009B 000357AA
	s_cmp_ge_u32 s80, 0x200                                    // 000000006AA8: BF09FF50 00000200
	s_cselect_b32 s59, 0x200, s59                              // 000000006AB0: 853B3BFF 00000200
	s_setvskip s20, 0                                          // 000000006AB8: BF108014
	global_atomic_pk_add_bf16 v92, v76, s[8:9]                 // 000000006ABC: DD488000 00084C5C
	s_setvskip 0, 0                                            // 000000006AC4: BF108080
	s_setvskip s20, 0                                          // 000000006AC8: BF108014
	global_atomic_pk_add_bf16 v92, v77, s[8:9] offset:256      // 000000006ACC: DD488100 00084D5C
	s_setvskip 0, 0                                            // 000000006AD4: BF108080
	s_setvskip s20, 1                                          // 000000006AD8: BF108114
	global_atomic_pk_add_bf16 v94, v78, s[8:9]                 // 000000006ADC: DD488000 00084E5E
	s_setvskip 0, 0                                            // 000000006AE4: BF108080
	s_setvskip s20, 1                                          // 000000006AE8: BF108114
	global_atomic_pk_add_bf16 v94, v79, s[8:9] offset:256      // 000000006AEC: DD488100 00084F5E
	s_setvskip 0, 0                                            // 000000006AF4: BF108080
	s_setvskip s20, 2                                          // 000000006AF8: BF108214
	global_atomic_pk_add_bf16 v96, v80, s[8:9]                 // 000000006AFC: DD488000 00085060
	s_setvskip 0, 0                                            // 000000006B04: BF108080
	s_setvskip s20, 2                                          // 000000006B08: BF108214
	global_atomic_pk_add_bf16 v96, v81, s[8:9] offset:256      // 000000006B0C: DD488100 00085160
	s_setvskip 0, 0                                            // 000000006B14: BF108080
	s_setvskip s20, 3                                          // 000000006B18: BF108314
	global_atomic_pk_add_bf16 v98, v82, s[8:9]                 // 000000006B1C: DD488000 00085262
	s_setvskip 0, 0                                            // 000000006B24: BF108080
	s_setvskip s20, 3                                          // 000000006B28: BF108314
	global_atomic_pk_add_bf16 v98, v83, s[8:9] offset:256      // 000000006B2C: DD488100 00085362
	s_setvskip 0, 0                                            // 000000006B34: BF108080
	s_setvskip s20, 4                                          // 000000006B38: BF108414
	global_atomic_pk_add_bf16 v100, v84, s[8:9]                // 000000006B3C: DD488000 00085464
	s_setvskip 0, 0                                            // 000000006B44: BF108080
	s_setvskip s20, 4                                          // 000000006B48: BF108414
	global_atomic_pk_add_bf16 v100, v85, s[8:9] offset:256     // 000000006B4C: DD488100 00085564
	s_setvskip 0, 0                                            // 000000006B54: BF108080
	s_setvskip s20, 5                                          // 000000006B58: BF108514
	global_atomic_pk_add_bf16 v102, v86, s[8:9]                // 000000006B5C: DD488000 00085666
	s_setvskip 0, 0                                            // 000000006B64: BF108080
	s_setvskip s20, 5                                          // 000000006B68: BF108514
	global_atomic_pk_add_bf16 v102, v87, s[8:9] offset:256     // 000000006B6C: DD488100 00085766
	s_setvskip 0, 0                                            // 000000006B74: BF108080
	s_setvskip s20, 6                                          // 000000006B78: BF108614
	global_atomic_pk_add_bf16 v104, v88, s[8:9]                // 000000006B7C: DD488000 00085868
	s_setvskip 0, 0                                            // 000000006B84: BF108080
	s_setvskip s20, 6                                          // 000000006B88: BF108614
	global_atomic_pk_add_bf16 v104, v89, s[8:9] offset:256     // 000000006B8C: DD488100 00085968
	s_setvskip 0, 0                                            // 000000006B94: BF108080
	s_setvskip s20, 7                                          // 000000006B98: BF108714
	global_atomic_pk_add_bf16 v106, v90, s[8:9]                // 000000006B9C: DD488000 00085A6A
	s_setvskip 0, 0                                            // 000000006BA4: BF108080
	s_setvskip s20, 7                                          // 000000006BA8: BF108714
	global_atomic_pk_add_bf16 v106, v91, s[8:9] offset:256     // 000000006BAC: DD488100 00085B6A
	s_setvskip 0, 0                                            // 000000006BB4: BF108080
	s_add_u32 s8, s59, s8                                      // 000000006BB8: 8008083B
	s_addc_u32 s9, 0, s9                                       // 000000006BBC: 82090980
	s_addk_i32 s80, 0x100                                      // 000000006BC0: B7500100
	s_cmp_lt_i32 s80, s81                                      // 000000006BC4: BF045150
	s_cbranch_scc0 label_0931                                  // 000000006BC8: BF84F8FE
	s_branch label_0DF3                                        // 000000006BCC: BF82FDBF

0000000000006bd0 <label_1034>:
	s_cmp_ge_u32 s59, 0                                        // 000000006BD0: BF09803B
	s_cselect_b32 s59, 0x200, s59                              // 000000006BD4: 853B3BFF 00000200
	s_waitcnt lgkmcnt(0)                                       // 000000006BDC: BF8CC07F
	s_barrier                                                  // 000000006BE0: BF8A0000
	s_cmp_eq_u32 s64, 0x100                                    // 000000006BE4: BF06FF40 00000100
	s_cbranch_scc0 label_10B0                                  // 000000006BEC: BF840074
	ds_write_b64 v8, v[108:109]                                // 000000006BF0: D89A0000 00006C08
	ds_write_b64 v8, v[110:111] offset:8704                    // 000000006BF8: D89A2200 00006E08
	ds_write_b64 v8, v[112:113] offset:544                     // 000000006C00: D89A0220 00007008
	ds_write_b64 v8, v[114:115] offset:9248                    // 000000006C08: D89A2420 00007208
	ds_write_b64 v8, v[116:117] offset:4352                    // 000000006C10: D89A1100 00007408
	ds_write_b64 v8, v[118:119] offset:13056                   // 000000006C18: D89A3300 00007608
	ds_write_b64 v8, v[120:121] offset:4896                    // 000000006C20: D89A1320 00007808
	ds_write_b64 v8, v[122:123] offset:13600                   // 000000006C28: D89A3520 00007A08
	s_waitcnt lgkmcnt(0)                                       // 000000006C30: BF8CC07F
	s_barrier                                                  // 000000006C34: BF8A0000
	ds_read_b32 v76, v9                                        // 000000006C38: D86C0000 4C000009
	ds_read_b32 v77, v9 offset:4352                            // 000000006C40: D86C1100 4D000009
	ds_read_b32 v78, v9 offset:8                               // 000000006C48: D86C0008 4E000009
	ds_read_b32 v79, v9 offset:4360                            // 000000006C50: D86C1108 4F000009
	ds_read_b32 v80, v9 offset:32                              // 000000006C58: D86C0020 50000009
	ds_read_b32 v81, v9 offset:4384                            // 000000006C60: D86C1120 51000009
	ds_read_b32 v82, v9 offset:40                              // 000000006C68: D86C0028 52000009
	ds_read_b32 v83, v9 offset:4392                            // 000000006C70: D86C1128 53000009
	ds_read_b32 v84, v9 offset:8704                            // 000000006C78: D86C2200 54000009
	ds_read_b32 v85, v9 offset:13056                           // 000000006C80: D86C3300 55000009
	ds_read_b32 v86, v9 offset:8712                            // 000000006C88: D86C2208 56000009
	ds_read_b32 v87, v9 offset:13064                           // 000000006C90: D86C3308 57000009
	ds_read_b32 v88, v9 offset:8736                            // 000000006C98: D86C2220 58000009
	ds_read_b32 v89, v9 offset:13088                           // 000000006CA0: D86C3320 59000009
	ds_read_b32 v90, v9 offset:8744                            // 000000006CA8: D86C2228 5A000009
	ds_read_b32 v91, v9 offset:13096                           // 000000006CB0: D86C3328 5B000009
	s_waitcnt lgkmcnt(0)                                       // 000000006CB8: BF8CC07F
	s_setvskip s20, 0                                          // 000000006CBC: BF108014
	global_atomic_pk_add_bf16 v92, v76, s[8:9]                 // 000000006CC0: DD488000 00084C5C
	s_setvskip 0, 0                                            // 000000006CC8: BF108080
	s_setvskip s20, 0                                          // 000000006CCC: BF108014
	global_atomic_pk_add_bf16 v92, v77, s[8:9] offset:256      // 000000006CD0: DD488100 00084D5C
	s_setvskip 0, 0                                            // 000000006CD8: BF108080
	s_setvskip s20, 1                                          // 000000006CDC: BF108114
	global_atomic_pk_add_bf16 v94, v78, s[8:9]                 // 000000006CE0: DD488000 00084E5E
	s_setvskip 0, 0                                            // 000000006CE8: BF108080
	s_setvskip s20, 1                                          // 000000006CEC: BF108114
	global_atomic_pk_add_bf16 v94, v79, s[8:9] offset:256      // 000000006CF0: DD488100 00084F5E
	s_setvskip 0, 0                                            // 000000006CF8: BF108080
	s_setvskip s20, 2                                          // 000000006CFC: BF108214
	global_atomic_pk_add_bf16 v96, v80, s[8:9]                 // 000000006D00: DD488000 00085060
	s_setvskip 0, 0                                            // 000000006D08: BF108080
	s_setvskip s20, 2                                          // 000000006D0C: BF108214
	global_atomic_pk_add_bf16 v96, v81, s[8:9] offset:256      // 000000006D10: DD488100 00085160
	s_setvskip 0, 0                                            // 000000006D18: BF108080
	s_setvskip s20, 3                                          // 000000006D1C: BF108314
	global_atomic_pk_add_bf16 v98, v82, s[8:9]                 // 000000006D20: DD488000 00085262
	s_setvskip 0, 0                                            // 000000006D28: BF108080
	s_setvskip s20, 3                                          // 000000006D2C: BF108314
	global_atomic_pk_add_bf16 v98, v83, s[8:9] offset:256      // 000000006D30: DD488100 00085362
	s_setvskip 0, 0                                            // 000000006D38: BF108080
	s_setvskip s20, 4                                          // 000000006D3C: BF108414
	global_atomic_pk_add_bf16 v100, v84, s[8:9]                // 000000006D40: DD488000 00085464
	s_setvskip 0, 0                                            // 000000006D48: BF108080
	s_setvskip s20, 4                                          // 000000006D4C: BF108414
	global_atomic_pk_add_bf16 v100, v85, s[8:9] offset:256     // 000000006D50: DD488100 00085564
	s_setvskip 0, 0                                            // 000000006D58: BF108080
	s_setvskip s20, 5                                          // 000000006D5C: BF108514
	global_atomic_pk_add_bf16 v102, v86, s[8:9]                // 000000006D60: DD488000 00085666
	s_setvskip 0, 0                                            // 000000006D68: BF108080
	s_setvskip s20, 5                                          // 000000006D6C: BF108514
	global_atomic_pk_add_bf16 v102, v87, s[8:9] offset:256     // 000000006D70: DD488100 00085766
	s_setvskip 0, 0                                            // 000000006D78: BF108080
	s_setvskip s20, 6                                          // 000000006D7C: BF108614
	global_atomic_pk_add_bf16 v104, v88, s[8:9]                // 000000006D80: DD488000 00085868
	s_setvskip 0, 0                                            // 000000006D88: BF108080
	s_setvskip s20, 6                                          // 000000006D8C: BF108614
	global_atomic_pk_add_bf16 v104, v89, s[8:9] offset:256     // 000000006D90: DD488100 00085968
	s_setvskip 0, 0                                            // 000000006D98: BF108080
	s_setvskip s20, 7                                          // 000000006D9C: BF108714
	global_atomic_pk_add_bf16 v106, v90, s[8:9]                // 000000006DA0: DD488000 00085A6A
	s_setvskip 0, 0                                            // 000000006DA8: BF108080
	s_setvskip s20, 7                                          // 000000006DAC: BF108714
	global_atomic_pk_add_bf16 v106, v91, s[8:9] offset:256     // 000000006DB0: DD488100 00085B6A
	s_setvskip 0, 0                                            // 000000006DB8: BF108080
	s_branch label_1186                                        // 000000006DBC: BF8200D6

0000000000006dc0 <label_10B0>:
	ds_read_b32 v76, v9                                        // 000000006DC0: D86C0000 4C000009
	ds_read_b32 v77, v9 offset:4352                            // 000000006DC8: D86C1100 4D000009
	ds_read_b32 v78, v9 offset:8                               // 000000006DD0: D86C0008 4E000009
	ds_read_b32 v79, v9 offset:4360                            // 000000006DD8: D86C1108 4F000009
	ds_read_b32 v80, v9 offset:32                              // 000000006DE0: D86C0020 50000009
	ds_read_b32 v81, v9 offset:4384                            // 000000006DE8: D86C1120 51000009
	ds_read_b32 v82, v9 offset:40                              // 000000006DF0: D86C0028 52000009
	ds_read_b32 v83, v9 offset:4392                            // 000000006DF8: D86C1128 53000009
	ds_read_b32 v84, v9 offset:8704                            // 000000006E00: D86C2200 54000009
	ds_read_b32 v85, v9 offset:13056                           // 000000006E08: D86C3300 55000009
	ds_read_b32 v86, v9 offset:8712                            // 000000006E10: D86C2208 56000009
	ds_read_b32 v87, v9 offset:13064                           // 000000006E18: D86C3308 57000009
	ds_read_b32 v88, v9 offset:8736                            // 000000006E20: D86C2220 58000009
	ds_read_b32 v89, v9 offset:13088                           // 000000006E28: D86C3320 59000009
	ds_read_b32 v90, v9 offset:8744                            // 000000006E30: D86C2228 5A000009
	ds_read_b32 v91, v9 offset:13096                           // 000000006E38: D86C3328 5B000009
	s_waitcnt lgkmcnt(0)                                       // 000000006E40: BF8CC07F
	s_setvskip s20, 0                                          // 000000006E44: BF108014
	global_atomic_pk_add_bf16 v92, v76, s[8:9]                 // 000000006E48: DD488000 00084C5C
	s_setvskip 0, 0                                            // 000000006E50: BF108080
	s_setvskip s20, 0                                          // 000000006E54: BF108014
	global_atomic_pk_add_bf16 v92, v77, s[8:9] offset:256      // 000000006E58: DD488100 00084D5C
	s_setvskip 0, 0                                            // 000000006E60: BF108080
	s_setvskip s20, 1                                          // 000000006E64: BF108114
	global_atomic_pk_add_bf16 v94, v78, s[8:9]                 // 000000006E68: DD488000 00084E5E
	s_setvskip 0, 0                                            // 000000006E70: BF108080
	s_setvskip s20, 1                                          // 000000006E74: BF108114
	global_atomic_pk_add_bf16 v94, v79, s[8:9] offset:256      // 000000006E78: DD488100 00084F5E
	s_setvskip 0, 0                                            // 000000006E80: BF108080
	s_setvskip s20, 2                                          // 000000006E84: BF108214
	global_atomic_pk_add_bf16 v96, v80, s[8:9]                 // 000000006E88: DD488000 00085060
	s_setvskip 0, 0                                            // 000000006E90: BF108080
	s_setvskip s20, 2                                          // 000000006E94: BF108214
	global_atomic_pk_add_bf16 v96, v81, s[8:9] offset:256      // 000000006E98: DD488100 00085160
	s_setvskip 0, 0                                            // 000000006EA0: BF108080
	s_setvskip s20, 3                                          // 000000006EA4: BF108314
	global_atomic_pk_add_bf16 v98, v82, s[8:9]                 // 000000006EA8: DD488000 00085262
	s_setvskip 0, 0                                            // 000000006EB0: BF108080
	s_setvskip s20, 3                                          // 000000006EB4: BF108314
	global_atomic_pk_add_bf16 v98, v83, s[8:9] offset:256      // 000000006EB8: DD488100 00085362
	s_setvskip 0, 0                                            // 000000006EC0: BF108080
	s_setvskip s20, 4                                          // 000000006EC4: BF108414
	global_atomic_pk_add_bf16 v100, v84, s[8:9]                // 000000006EC8: DD488000 00085464
	s_setvskip 0, 0                                            // 000000006ED0: BF108080
	s_setvskip s20, 4                                          // 000000006ED4: BF108414
	global_atomic_pk_add_bf16 v100, v85, s[8:9] offset:256     // 000000006ED8: DD488100 00085564
	s_setvskip 0, 0                                            // 000000006EE0: BF108080
	s_setvskip s20, 5                                          // 000000006EE4: BF108514
	global_atomic_pk_add_bf16 v102, v86, s[8:9]                // 000000006EE8: DD488000 00085666
	s_setvskip 0, 0                                            // 000000006EF0: BF108080
	s_setvskip s20, 5                                          // 000000006EF4: BF108514
	global_atomic_pk_add_bf16 v102, v87, s[8:9] offset:256     // 000000006EF8: DD488100 00085766
	s_setvskip 0, 0                                            // 000000006F00: BF108080
	s_setvskip s20, 6                                          // 000000006F04: BF108614
	global_atomic_pk_add_bf16 v104, v88, s[8:9]                // 000000006F08: DD488000 00085868
	s_setvskip 0, 0                                            // 000000006F10: BF108080
	s_setvskip s20, 6                                          // 000000006F14: BF108614
	global_atomic_pk_add_bf16 v104, v89, s[8:9] offset:256     // 000000006F18: DD488100 00085968
	s_setvskip 0, 0                                            // 000000006F20: BF108080
	s_setvskip s20, 7                                          // 000000006F24: BF108714
	global_atomic_pk_add_bf16 v106, v90, s[8:9]                // 000000006F28: DD488000 00085A6A
	s_setvskip 0, 0                                            // 000000006F30: BF108080
	s_setvskip s20, 7                                          // 000000006F34: BF108714
	global_atomic_pk_add_bf16 v106, v91, s[8:9] offset:256     // 000000006F38: DD488100 00085B6A
	s_setvskip 0, 0                                            // 000000006F40: BF108080
	s_add_u32 s8, s59, s8                                      // 000000006F44: 8008083B
	s_addc_u32 s9, 0, s9                                       // 000000006F48: 82090980
	ds_write_b64 v8, v[140:141] offset:17408                   // 000000006F4C: D89A4400 00008C08
	ds_write_b64 v8, v[142:143] offset:26112                   // 000000006F54: D89A6600 00008E08
	ds_write_b64 v8, v[144:145] offset:17952                   // 000000006F5C: D89A4620 00009008
	ds_write_b64 v8, v[146:147] offset:26656                   // 000000006F64: D89A6820 00009208
	ds_write_b64 v8, v[148:149] offset:21760                   // 000000006F6C: D89A5500 00009408
	ds_write_b64 v8, v[150:151] offset:30464                   // 000000006F74: D89A7700 00009608
	ds_write_b64 v8, v[152:153] offset:22304                   // 000000006F7C: D89A5720 00009808
	ds_write_b64 v8, v[154:155] offset:31008                   // 000000006F84: D89A7920 00009A08
	s_waitcnt lgkmcnt(0)                                       // 000000006F8C: BF8CC07F
	s_barrier                                                  // 000000006F90: BF8A0000
	ds_read_b32 v76, v9 offset:17408                           // 000000006F94: D86C4400 4C000009
	ds_read_b32 v77, v9 offset:21760                           // 000000006F9C: D86C5500 4D000009
	ds_read_b32 v78, v9 offset:17416                           // 000000006FA4: D86C4408 4E000009
	ds_read_b32 v79, v9 offset:21768                           // 000000006FAC: D86C5508 4F000009
	ds_read_b32 v80, v9 offset:17440                           // 000000006FB4: D86C4420 50000009
	ds_read_b32 v81, v9 offset:21792                           // 000000006FBC: D86C5520 51000009
	ds_read_b32 v82, v9 offset:17448                           // 000000006FC4: D86C4428 52000009
	ds_read_b32 v83, v9 offset:21800                           // 000000006FCC: D86C5528 53000009
	ds_read_b32 v84, v9 offset:26112                           // 000000006FD4: D86C6600 54000009
	ds_read_b32 v85, v9 offset:30464                           // 000000006FDC: D86C7700 55000009
	ds_read_b32 v86, v9 offset:26120                           // 000000006FE4: D86C6608 56000009
	ds_read_b32 v87, v9 offset:30472                           // 000000006FEC: D86C7708 57000009
	ds_read_b32 v88, v9 offset:26144                           // 000000006FF4: D86C6620 58000009
	ds_read_b32 v89, v9 offset:30496                           // 000000006FFC: D86C7720 59000009
	ds_read_b32 v90, v9 offset:26152                           // 000000007004: D86C6628 5A000009
	ds_read_b32 v91, v9 offset:30504                           // 00000000700C: D86C7728 5B000009
	s_waitcnt lgkmcnt(0)                                       // 000000007014: BF8CC07F
	s_setvskip s20, 0                                          // 000000007018: BF108014
	global_atomic_pk_add_bf16 v92, v76, s[8:9]                 // 00000000701C: DD488000 00084C5C
	s_setvskip 0, 0                                            // 000000007024: BF108080
	s_setvskip s20, 0                                          // 000000007028: BF108014
	global_atomic_pk_add_bf16 v92, v77, s[8:9] offset:256      // 00000000702C: DD488100 00084D5C
	s_setvskip 0, 0                                            // 000000007034: BF108080
	s_setvskip s20, 1                                          // 000000007038: BF108114
	global_atomic_pk_add_bf16 v94, v78, s[8:9]                 // 00000000703C: DD488000 00084E5E
	s_setvskip 0, 0                                            // 000000007044: BF108080
	s_setvskip s20, 1                                          // 000000007048: BF108114
	global_atomic_pk_add_bf16 v94, v79, s[8:9] offset:256      // 00000000704C: DD488100 00084F5E
	s_setvskip 0, 0                                            // 000000007054: BF108080
	s_setvskip s20, 2                                          // 000000007058: BF108214
	global_atomic_pk_add_bf16 v96, v80, s[8:9]                 // 00000000705C: DD488000 00085060
	s_setvskip 0, 0                                            // 000000007064: BF108080
	s_setvskip s20, 2                                          // 000000007068: BF108214
	global_atomic_pk_add_bf16 v96, v81, s[8:9] offset:256      // 00000000706C: DD488100 00085160
	s_setvskip 0, 0                                            // 000000007074: BF108080
	s_setvskip s20, 3                                          // 000000007078: BF108314
	global_atomic_pk_add_bf16 v98, v82, s[8:9]                 // 00000000707C: DD488000 00085262
	s_setvskip 0, 0                                            // 000000007084: BF108080
	s_setvskip s20, 3                                          // 000000007088: BF108314
	global_atomic_pk_add_bf16 v98, v83, s[8:9] offset:256      // 00000000708C: DD488100 00085362
	s_setvskip 0, 0                                            // 000000007094: BF108080
	s_setvskip s20, 4                                          // 000000007098: BF108414
	global_atomic_pk_add_bf16 v100, v84, s[8:9]                // 00000000709C: DD488000 00085464
	s_setvskip 0, 0                                            // 0000000070A4: BF108080
	s_setvskip s20, 4                                          // 0000000070A8: BF108414
	global_atomic_pk_add_bf16 v100, v85, s[8:9] offset:256     // 0000000070AC: DD488100 00085564
	s_setvskip 0, 0                                            // 0000000070B4: BF108080
	s_setvskip s20, 5                                          // 0000000070B8: BF108514
	global_atomic_pk_add_bf16 v102, v86, s[8:9]                // 0000000070BC: DD488000 00085666
	s_setvskip 0, 0                                            // 0000000070C4: BF108080
	s_setvskip s20, 5                                          // 0000000070C8: BF108514
	global_atomic_pk_add_bf16 v102, v87, s[8:9] offset:256     // 0000000070CC: DD488100 00085766
	s_setvskip 0, 0                                            // 0000000070D4: BF108080
	s_setvskip s20, 6                                          // 0000000070D8: BF108614
	global_atomic_pk_add_bf16 v104, v88, s[8:9]                // 0000000070DC: DD488000 00085868
	s_setvskip 0, 0                                            // 0000000070E4: BF108080
	s_setvskip s20, 6                                          // 0000000070E8: BF108614
	global_atomic_pk_add_bf16 v104, v89, s[8:9] offset:256     // 0000000070EC: DD488100 00085968
	s_setvskip 0, 0                                            // 0000000070F4: BF108080
	s_setvskip s20, 7                                          // 0000000070F8: BF108714
	global_atomic_pk_add_bf16 v106, v90, s[8:9]                // 0000000070FC: DD488000 00085A6A
	s_setvskip 0, 0                                            // 000000007104: BF108080
	s_setvskip s20, 7                                          // 000000007108: BF108714
	global_atomic_pk_add_bf16 v106, v91, s[8:9] offset:256     // 00000000710C: DD488100 00085B6A
	s_setvskip 0, 0                                            // 000000007114: BF108080

0000000000007118 <label_1186>:
	s_waitcnt vmcnt(0) expcnt(0) lgkmcnt(0)                    // 000000007118: BF8C0000
	s_endpgm                                                   // 00000000711C: BF810000
